;; amdgpu-corpus repo=ROCm/rocFFT kind=compiled arch=gfx906 opt=O3
	.text
	.amdgcn_target "amdgcn-amd-amdhsa--gfx906"
	.amdhsa_code_object_version 6
	.protected	fft_rtc_fwd_len1890_factors_2_3_3_3_7_5_wgs_126_tpt_126_halfLds_half_ip_CI_unitstride_sbrr_R2C_dirReg ; -- Begin function fft_rtc_fwd_len1890_factors_2_3_3_3_7_5_wgs_126_tpt_126_halfLds_half_ip_CI_unitstride_sbrr_R2C_dirReg
	.globl	fft_rtc_fwd_len1890_factors_2_3_3_3_7_5_wgs_126_tpt_126_halfLds_half_ip_CI_unitstride_sbrr_R2C_dirReg
	.p2align	8
	.type	fft_rtc_fwd_len1890_factors_2_3_3_3_7_5_wgs_126_tpt_126_halfLds_half_ip_CI_unitstride_sbrr_R2C_dirReg,@function
fft_rtc_fwd_len1890_factors_2_3_3_3_7_5_wgs_126_tpt_126_halfLds_half_ip_CI_unitstride_sbrr_R2C_dirReg: ; @fft_rtc_fwd_len1890_factors_2_3_3_3_7_5_wgs_126_tpt_126_halfLds_half_ip_CI_unitstride_sbrr_R2C_dirReg
; %bb.0:
	s_load_dwordx2 s[12:13], s[4:5], 0x50
	s_load_dwordx4 s[8:11], s[4:5], 0x0
	s_load_dwordx2 s[2:3], s[4:5], 0x18
	v_mul_u32_u24_e32 v1, 0x209, v0
	v_add_u32_sdwa v5, s6, v1 dst_sel:DWORD dst_unused:UNUSED_PAD src0_sel:DWORD src1_sel:WORD_1
	v_mov_b32_e32 v3, 0
	s_waitcnt lgkmcnt(0)
	v_cmp_lt_u64_e64 s[0:1], s[10:11], 2
	v_mov_b32_e32 v1, 0
	v_mov_b32_e32 v6, v3
	s_and_b64 vcc, exec, s[0:1]
	v_mov_b32_e32 v2, 0
	s_cbranch_vccnz .LBB0_8
; %bb.1:
	s_load_dwordx2 s[0:1], s[4:5], 0x10
	s_add_u32 s6, s2, 8
	s_addc_u32 s7, s3, 0
	v_mov_b32_e32 v1, 0
	v_mov_b32_e32 v2, 0
	s_waitcnt lgkmcnt(0)
	s_add_u32 s14, s0, 8
	s_addc_u32 s15, s1, 0
	s_mov_b64 s[16:17], 1
.LBB0_2:                                ; =>This Inner Loop Header: Depth=1
	s_load_dwordx2 s[18:19], s[14:15], 0x0
                                        ; implicit-def: $vgpr7_vgpr8
	s_waitcnt lgkmcnt(0)
	v_or_b32_e32 v4, s19, v6
	v_cmp_ne_u64_e32 vcc, 0, v[3:4]
	s_and_saveexec_b64 s[0:1], vcc
	s_xor_b64 s[20:21], exec, s[0:1]
	s_cbranch_execz .LBB0_4
; %bb.3:                                ;   in Loop: Header=BB0_2 Depth=1
	v_cvt_f32_u32_e32 v4, s18
	v_cvt_f32_u32_e32 v7, s19
	s_sub_u32 s0, 0, s18
	s_subb_u32 s1, 0, s19
	v_mac_f32_e32 v4, 0x4f800000, v7
	v_rcp_f32_e32 v4, v4
	v_mul_f32_e32 v4, 0x5f7ffffc, v4
	v_mul_f32_e32 v7, 0x2f800000, v4
	v_trunc_f32_e32 v7, v7
	v_mac_f32_e32 v4, 0xcf800000, v7
	v_cvt_u32_f32_e32 v7, v7
	v_cvt_u32_f32_e32 v4, v4
	v_mul_lo_u32 v8, s0, v7
	v_mul_hi_u32 v9, s0, v4
	v_mul_lo_u32 v11, s1, v4
	v_mul_lo_u32 v10, s0, v4
	v_add_u32_e32 v8, v9, v8
	v_add_u32_e32 v8, v8, v11
	v_mul_hi_u32 v9, v4, v10
	v_mul_lo_u32 v11, v4, v8
	v_mul_hi_u32 v13, v4, v8
	v_mul_hi_u32 v12, v7, v10
	v_mul_lo_u32 v10, v7, v10
	v_mul_hi_u32 v14, v7, v8
	v_add_co_u32_e32 v9, vcc, v9, v11
	v_addc_co_u32_e32 v11, vcc, 0, v13, vcc
	v_mul_lo_u32 v8, v7, v8
	v_add_co_u32_e32 v9, vcc, v9, v10
	v_addc_co_u32_e32 v9, vcc, v11, v12, vcc
	v_addc_co_u32_e32 v10, vcc, 0, v14, vcc
	v_add_co_u32_e32 v8, vcc, v9, v8
	v_addc_co_u32_e32 v9, vcc, 0, v10, vcc
	v_add_co_u32_e32 v4, vcc, v4, v8
	v_addc_co_u32_e32 v7, vcc, v7, v9, vcc
	v_mul_lo_u32 v8, s0, v7
	v_mul_hi_u32 v9, s0, v4
	v_mul_lo_u32 v10, s1, v4
	v_mul_lo_u32 v11, s0, v4
	v_add_u32_e32 v8, v9, v8
	v_add_u32_e32 v8, v8, v10
	v_mul_lo_u32 v12, v4, v8
	v_mul_hi_u32 v13, v4, v11
	v_mul_hi_u32 v14, v4, v8
	;; [unrolled: 1-line block ×3, first 2 shown]
	v_mul_lo_u32 v11, v7, v11
	v_mul_hi_u32 v9, v7, v8
	v_add_co_u32_e32 v12, vcc, v13, v12
	v_addc_co_u32_e32 v13, vcc, 0, v14, vcc
	v_mul_lo_u32 v8, v7, v8
	v_add_co_u32_e32 v11, vcc, v12, v11
	v_addc_co_u32_e32 v10, vcc, v13, v10, vcc
	v_addc_co_u32_e32 v9, vcc, 0, v9, vcc
	v_add_co_u32_e32 v8, vcc, v10, v8
	v_addc_co_u32_e32 v9, vcc, 0, v9, vcc
	v_add_co_u32_e32 v4, vcc, v4, v8
	v_addc_co_u32_e32 v9, vcc, v7, v9, vcc
	v_mad_u64_u32 v[7:8], s[0:1], v5, v9, 0
	v_mul_hi_u32 v10, v5, v4
	v_add_co_u32_e32 v11, vcc, v10, v7
	v_addc_co_u32_e32 v12, vcc, 0, v8, vcc
	v_mad_u64_u32 v[7:8], s[0:1], v6, v4, 0
	v_mad_u64_u32 v[9:10], s[0:1], v6, v9, 0
	v_add_co_u32_e32 v4, vcc, v11, v7
	v_addc_co_u32_e32 v4, vcc, v12, v8, vcc
	v_addc_co_u32_e32 v7, vcc, 0, v10, vcc
	v_add_co_u32_e32 v4, vcc, v4, v9
	v_addc_co_u32_e32 v9, vcc, 0, v7, vcc
	v_mul_lo_u32 v10, s19, v4
	v_mul_lo_u32 v11, s18, v9
	v_mad_u64_u32 v[7:8], s[0:1], s18, v4, 0
	v_add3_u32 v8, v8, v11, v10
	v_sub_u32_e32 v10, v6, v8
	v_mov_b32_e32 v11, s19
	v_sub_co_u32_e32 v7, vcc, v5, v7
	v_subb_co_u32_e64 v10, s[0:1], v10, v11, vcc
	v_subrev_co_u32_e64 v11, s[0:1], s18, v7
	v_subbrev_co_u32_e64 v10, s[0:1], 0, v10, s[0:1]
	v_cmp_le_u32_e64 s[0:1], s19, v10
	v_cndmask_b32_e64 v12, 0, -1, s[0:1]
	v_cmp_le_u32_e64 s[0:1], s18, v11
	v_cndmask_b32_e64 v11, 0, -1, s[0:1]
	v_cmp_eq_u32_e64 s[0:1], s19, v10
	v_cndmask_b32_e64 v10, v12, v11, s[0:1]
	v_add_co_u32_e64 v11, s[0:1], 2, v4
	v_addc_co_u32_e64 v12, s[0:1], 0, v9, s[0:1]
	v_add_co_u32_e64 v13, s[0:1], 1, v4
	v_addc_co_u32_e64 v14, s[0:1], 0, v9, s[0:1]
	v_subb_co_u32_e32 v8, vcc, v6, v8, vcc
	v_cmp_ne_u32_e64 s[0:1], 0, v10
	v_cmp_le_u32_e32 vcc, s19, v8
	v_cndmask_b32_e64 v10, v14, v12, s[0:1]
	v_cndmask_b32_e64 v12, 0, -1, vcc
	v_cmp_le_u32_e32 vcc, s18, v7
	v_cndmask_b32_e64 v7, 0, -1, vcc
	v_cmp_eq_u32_e32 vcc, s19, v8
	v_cndmask_b32_e32 v7, v12, v7, vcc
	v_cmp_ne_u32_e32 vcc, 0, v7
	v_cndmask_b32_e64 v7, v13, v11, s[0:1]
	v_cndmask_b32_e32 v8, v9, v10, vcc
	v_cndmask_b32_e32 v7, v4, v7, vcc
.LBB0_4:                                ;   in Loop: Header=BB0_2 Depth=1
	s_andn2_saveexec_b64 s[0:1], s[20:21]
	s_cbranch_execz .LBB0_6
; %bb.5:                                ;   in Loop: Header=BB0_2 Depth=1
	v_cvt_f32_u32_e32 v4, s18
	s_sub_i32 s20, 0, s18
	v_rcp_iflag_f32_e32 v4, v4
	v_mul_f32_e32 v4, 0x4f7ffffe, v4
	v_cvt_u32_f32_e32 v4, v4
	v_mul_lo_u32 v7, s20, v4
	v_mul_hi_u32 v7, v4, v7
	v_add_u32_e32 v4, v4, v7
	v_mul_hi_u32 v4, v5, v4
	v_mul_lo_u32 v7, v4, s18
	v_add_u32_e32 v8, 1, v4
	v_sub_u32_e32 v7, v5, v7
	v_subrev_u32_e32 v9, s18, v7
	v_cmp_le_u32_e32 vcc, s18, v7
	v_cndmask_b32_e32 v7, v7, v9, vcc
	v_cndmask_b32_e32 v4, v4, v8, vcc
	v_add_u32_e32 v8, 1, v4
	v_cmp_le_u32_e32 vcc, s18, v7
	v_cndmask_b32_e32 v7, v4, v8, vcc
	v_mov_b32_e32 v8, v3
.LBB0_6:                                ;   in Loop: Header=BB0_2 Depth=1
	s_or_b64 exec, exec, s[0:1]
	v_mul_lo_u32 v4, v8, s18
	v_mul_lo_u32 v11, v7, s19
	v_mad_u64_u32 v[9:10], s[0:1], v7, s18, 0
	s_load_dwordx2 s[0:1], s[6:7], 0x0
	s_add_u32 s16, s16, 1
	v_add3_u32 v4, v10, v11, v4
	v_sub_co_u32_e32 v5, vcc, v5, v9
	v_subb_co_u32_e32 v4, vcc, v6, v4, vcc
	s_waitcnt lgkmcnt(0)
	v_mul_lo_u32 v4, s0, v4
	v_mul_lo_u32 v6, s1, v5
	v_mad_u64_u32 v[1:2], s[0:1], s0, v5, v[1:2]
	s_addc_u32 s17, s17, 0
	s_add_u32 s6, s6, 8
	v_add3_u32 v2, v6, v2, v4
	v_mov_b32_e32 v4, s10
	v_mov_b32_e32 v5, s11
	s_addc_u32 s7, s7, 0
	v_cmp_ge_u64_e32 vcc, s[16:17], v[4:5]
	s_add_u32 s14, s14, 8
	s_addc_u32 s15, s15, 0
	s_cbranch_vccnz .LBB0_9
; %bb.7:                                ;   in Loop: Header=BB0_2 Depth=1
	v_mov_b32_e32 v5, v7
	v_mov_b32_e32 v6, v8
	s_branch .LBB0_2
.LBB0_8:
	v_mov_b32_e32 v8, v6
	v_mov_b32_e32 v7, v5
.LBB0_9:
	s_lshl_b64 s[0:1], s[10:11], 3
	s_add_u32 s0, s2, s0
	s_addc_u32 s1, s3, s1
	s_load_dwordx2 s[2:3], s[0:1], 0x0
	s_load_dwordx2 s[6:7], s[4:5], 0x20
                                        ; implicit-def: $vgpr12
                                        ; implicit-def: $vgpr9
                                        ; implicit-def: $vgpr6
                                        ; implicit-def: $vgpr11
	s_waitcnt lgkmcnt(0)
	v_mad_u64_u32 v[1:2], s[0:1], s2, v7, v[1:2]
	s_mov_b32 s0, 0x2082083
	v_mul_lo_u32 v3, s2, v8
	v_mul_lo_u32 v4, s3, v7
	v_mul_hi_u32 v5, v0, s0
	v_cmp_gt_u64_e32 vcc, s[6:7], v[7:8]
	v_cmp_le_u64_e64 s[0:1], s[6:7], v[7:8]
	v_add3_u32 v2, v4, v2, v3
	v_mul_u32_u24_e32 v3, 0x7e, v5
	v_sub_u32_e32 v0, v0, v3
                                        ; implicit-def: $vgpr4
                                        ; implicit-def: $vgpr8
	s_and_saveexec_b64 s[2:3], s[0:1]
	s_xor_b64 s[0:1], exec, s[2:3]
; %bb.10:
	v_add_u32_e32 v4, 0x7e, v0
	v_add_u32_e32 v12, 0xfc, v0
	;; [unrolled: 1-line block ×6, first 2 shown]
; %bb.11:
	s_or_saveexec_b64 s[2:3], s[0:1]
	v_lshlrev_b64 v[2:3], 2, v[1:2]
	s_xor_b64 exec, exec, s[2:3]
	s_cbranch_execz .LBB0_13
; %bb.12:
	v_mov_b32_e32 v1, 0
	v_mov_b32_e32 v4, s13
	v_add_co_u32_e64 v6, s[0:1], s12, v2
	v_addc_co_u32_e64 v7, s[0:1], v4, v3, s[0:1]
	v_lshlrev_b64 v[4:5], 2, v[0:1]
	v_add_u32_e32 v12, 0xfc, v0
	v_add_co_u32_e64 v4, s[0:1], v6, v4
	v_addc_co_u32_e64 v5, s[0:1], v7, v5, s[0:1]
	s_movk_i32 s0, 0x1000
	v_add_co_u32_e64 v6, s[0:1], s0, v4
	global_load_dword v1, v[4:5], off
	global_load_dword v10, v[4:5], off offset:504
	global_load_dword v13, v[4:5], off offset:1008
	;; [unrolled: 1-line block ×7, first 2 shown]
	v_addc_co_u32_e64 v7, s[0:1], 0, v5, s[0:1]
	global_load_dword v19, v[4:5], off offset:4032
	global_load_dword v20, v[6:7], off offset:440
	;; [unrolled: 1-line block ×7, first 2 shown]
	v_lshl_add_u32 v5, v0, 2, 0
	v_add_u32_e32 v4, 0x7e, v0
	v_add_u32_e32 v9, 0x17a, v0
	;; [unrolled: 1-line block ×11, first 2 shown]
	s_waitcnt vmcnt(11)
	ds_write2_b32 v7, v13, v14 offset0:124 offset1:250
	s_waitcnt vmcnt(9)
	ds_write2_b32 v26, v15, v16 offset0:120 offset1:246
	;; [unrolled: 2-line block ×3, first 2 shown]
	ds_write2_b32 v5, v1, v10 offset1:126
	s_waitcnt vmcnt(5)
	ds_write2_b32 v28, v19, v20 offset0:112 offset1:238
	s_waitcnt vmcnt(3)
	ds_write2_b32 v29, v21, v22 offset0:108 offset1:234
	;; [unrolled: 2-line block ×3, first 2 shown]
	s_waitcnt vmcnt(0)
	ds_write_b32 v5, v25 offset:7056
.LBB0_13:
	s_or_b64 exec, exec, s[2:3]
	v_lshlrev_b32_e32 v13, 2, v0
	v_add_u32_e32 v30, 0, v13
	v_add_u32_e32 v1, 0x1a00, v30
	s_waitcnt lgkmcnt(0)
	s_barrier
	ds_read2_b32 v[22:23], v1 offset0:37 offset1:163
	v_add_u32_e32 v1, 0x600, v30
	v_add_u32_e32 v18, 0xa00, v30
	ds_read2_b32 v[24:25], v1 offset0:120 offset1:246
	v_add_u32_e32 v19, 0x1600, v30
	v_add_u32_e32 v1, 0x200, v30
	ds_read2_b32 v[14:15], v18 offset0:116 offset1:242
	ds_read2_b32 v[26:27], v1 offset0:124 offset1:250
	v_add_u32_e32 v21, 0x1200, v30
	v_add_u32_e32 v20, 0xe00, v30
	ds_read2_b32 v[28:29], v19 offset0:41 offset1:167
	ds_read2_b32 v[31:32], v21 offset0:45 offset1:171
	ds_read2_b32 v[16:17], v30 offset1:126
	ds_read2_b32 v[33:34], v20 offset0:49 offset1:175
	v_add_u32_e32 v1, v30, v13
	s_waitcnt lgkmcnt(0)
	s_barrier
	v_pk_add_f16 v5, v16, v33 neg_lo:[0,1] neg_hi:[0,1]
	v_pk_fma_f16 v7, v16, 2.0, v5 op_sel_hi:[1,0,1] neg_lo:[0,0,1] neg_hi:[0,0,1]
	ds_write2_b32 v1, v7, v5 offset1:1
	v_pk_add_f16 v5, v17, v34 neg_lo:[0,1] neg_hi:[0,1]
	v_pk_fma_f16 v7, v17, 2.0, v5 op_sel_hi:[1,0,1] neg_lo:[0,0,1] neg_hi:[0,0,1]
	v_lshl_add_u32 v1, v4, 3, 0
	ds_write2_b32 v1, v7, v5 offset1:1
	v_pk_add_f16 v5, v26, v31 neg_lo:[0,1] neg_hi:[0,1]
	v_lshl_add_u32 v16, v12, 3, 0
	v_pk_fma_f16 v7, v26, 2.0, v5 op_sel_hi:[1,0,1] neg_lo:[0,0,1] neg_hi:[0,0,1]
	ds_write2_b32 v16, v7, v5 offset1:1
	v_pk_add_f16 v5, v27, v32 neg_lo:[0,1] neg_hi:[0,1]
	v_pk_fma_f16 v7, v27, 2.0, v5 op_sel_hi:[1,0,1] neg_lo:[0,0,1] neg_hi:[0,0,1]
	v_lshl_add_u32 v10, v9, 3, 0
	ds_write2_b32 v10, v7, v5 offset1:1
	v_pk_add_f16 v5, v24, v28 neg_lo:[0,1] neg_hi:[0,1]
	v_lshl_add_u32 v32, v6, 3, 0
	;; [unrolled: 8-line block ×3, first 2 shown]
	v_pk_fma_f16 v14, v14, 2.0, v7 op_sel_hi:[1,0,1] neg_lo:[0,0,1] neg_hi:[0,0,1]
	ds_write2_b32 v5, v14, v7 offset1:1
	v_pk_add_f16 v14, v15, v23 neg_lo:[0,1] neg_hi:[0,1]
	v_cmp_gt_u32_e64 s[0:1], 63, v0
	s_and_saveexec_b64 s[2:3], s[0:1]
	s_cbranch_execz .LBB0_15
; %bb.14:
	s_movk_i32 s4, 0x1b90
	v_pk_fma_f16 v5, v15, 2.0, v14 op_sel_hi:[1,0,1] neg_lo:[0,0,1] neg_hi:[0,0,1]
	v_add3_u32 v7, v30, v13, s4
	ds_write2_b32 v7, v5, v14 offset1:1
.LBB0_15:
	s_or_b64 exec, exec, s[2:3]
	v_and_b32_e32 v29, 1, v0
	v_lshlrev_b32_e32 v5, 3, v29
	s_waitcnt lgkmcnt(0)
	s_barrier
	global_load_dwordx2 v[27:28], v5, s[8:9]
	v_lshlrev_b32_e32 v15, 2, v4
	v_lshlrev_b32_e32 v5, 2, v8
	v_lshlrev_b32_e32 v34, 2, v9
	v_lshlrev_b32_e32 v7, 2, v6
	v_lshlrev_b32_e32 v17, 2, v12
	v_sub_u32_e32 v24, v1, v15
	ds_read2_b32 v[35:36], v21 offset0:108 offset1:234
	ds_read2_b32 v[37:38], v18 offset0:116 offset1:242
	;; [unrolled: 1-line block ×4, first 2 shown]
	v_sub_u32_e32 v26, v31, v5
	v_sub_u32_e32 v22, v16, v17
	;; [unrolled: 1-line block ×4, first 2 shown]
	ds_read_b32 v33, v24
	ds_read_b32 v43, v22
	;; [unrolled: 1-line block ×5, first 2 shown]
	ds_read_b32 v47, v30 offset:7056
	ds_read_u16 v48, v30 offset:6050
	ds_read_b32 v49, v30
	s_waitcnt lgkmcnt(11)
	v_lshrrev_b32_e32 v50, 16, v35
	v_lshrrev_b32_e32 v51, 16, v36
	s_waitcnt lgkmcnt(10)
	v_lshrrev_b32_e32 v52, 16, v37
	s_waitcnt lgkmcnt(9)
	;; [unrolled: 2-line block ×4, first 2 shown]
	v_lshrrev_b32_e32 v58, 16, v47
	v_lshrrev_b32_e32 v53, 16, v38
	;; [unrolled: 1-line block ×4, first 2 shown]
	s_waitcnt lgkmcnt(0)
	v_lshrrev_b32_e32 v59, 16, v49
	s_movk_i32 s2, 0x3aee
	s_mov_b32 s3, 0xbaee
	s_waitcnt vmcnt(0)
	s_barrier
	s_movk_i32 s4, 0xab
	v_mul_f16_sdwa v60, v28, v50 dst_sel:DWORD dst_unused:UNUSED_PAD src0_sel:WORD_1 src1_sel:DWORD
	v_mul_f16_sdwa v61, v28, v35 dst_sel:DWORD dst_unused:UNUSED_PAD src0_sel:WORD_1 src1_sel:DWORD
	;; [unrolled: 1-line block ×4, first 2 shown]
	v_fma_f16 v35, v28, v35, -v60
	v_mul_f16_sdwa v60, v27, v46 dst_sel:DWORD dst_unused:UNUSED_PAD src0_sel:WORD_1 src1_sel:DWORD
	v_mul_f16_sdwa v63, v28, v36 dst_sel:DWORD dst_unused:UNUSED_PAD src0_sel:WORD_1 src1_sel:DWORD
	;; [unrolled: 1-line block ×3, first 2 shown]
	v_mul_f16_sdwa v68, v48, v28 dst_sel:DWORD dst_unused:UNUSED_PAD src0_sel:DWORD src1_sel:WORD_1
	v_mul_f16_sdwa v69, v54, v28 dst_sel:DWORD dst_unused:UNUSED_PAD src0_sel:DWORD src1_sel:WORD_1
	v_mul_f16_sdwa v70, v28, v39 dst_sel:DWORD dst_unused:UNUSED_PAD src0_sel:WORD_1 src1_sel:DWORD
	v_mul_f16_sdwa v71, v40, v28 dst_sel:DWORD dst_unused:UNUSED_PAD src0_sel:DWORD src1_sel:WORD_1
	v_mul_f16_sdwa v76, v27, v57 dst_sel:DWORD dst_unused:UNUSED_PAD src0_sel:WORD_1 src1_sel:DWORD
	v_fma_f16 v36, v28, v36, -v62
	v_mul_f16_sdwa v62, v58, v28 dst_sel:DWORD dst_unused:UNUSED_PAD src0_sel:DWORD src1_sel:WORD_1
	v_fma_f16 v37, v27, v37, -v64
	v_mul_f16_sdwa v64, v47, v28 dst_sel:DWORD dst_unused:UNUSED_PAD src0_sel:DWORD src1_sel:WORD_1
	v_fma_f16 v57, v27, v57, v60
	v_mul_f16_sdwa v65, v27, v53 dst_sel:DWORD dst_unused:UNUSED_PAD src0_sel:WORD_1 src1_sel:DWORD
	v_mul_f16_sdwa v67, v27, v38 dst_sel:DWORD dst_unused:UNUSED_PAD src0_sel:WORD_1 src1_sel:DWORD
	v_mul_f16_sdwa v72, v55, v27 dst_sel:DWORD dst_unused:UNUSED_PAD src0_sel:DWORD src1_sel:WORD_1
	v_mul_f16_sdwa v73, v56, v27 dst_sel:DWORD dst_unused:UNUSED_PAD src0_sel:DWORD src1_sel:WORD_1
	;; [unrolled: 1-line block ×4, first 2 shown]
	v_fma_f16 v39, v28, v39, -v68
	v_fma_f16 v40, v40, v28, -v69
	;; [unrolled: 1-line block ×3, first 2 shown]
	v_fma_f16 v50, v28, v50, v61
	v_fma_f16 v51, v28, v51, v63
	;; [unrolled: 1-line block ×4, first 2 shown]
	v_fma_f16 v47, v47, v28, -v62
	v_fma_f16 v28, v58, v28, v64
	v_add_f16_e32 v58, v59, v57
	v_fma_f16 v38, v27, v38, -v65
	v_fma_f16 v41, v41, v27, -v72
	;; [unrolled: 1-line block ×3, first 2 shown]
	v_fma_f16 v52, v27, v52, v66
	v_fma_f16 v53, v27, v53, v67
	;; [unrolled: 1-line block ×4, first 2 shown]
	v_sub_f16_e32 v56, v57, v50
	v_add_f16_e32 v57, v57, v50
	v_add_f16_e32 v60, v46, v35
	;; [unrolled: 1-line block ×4, first 2 shown]
	v_fma_f16 v57, v57, -0.5, v59
	v_sub_f16_e32 v46, v46, v35
	v_fma_f16 v49, v60, -0.5, v49
	v_add_f16_e32 v35, v58, v35
	v_pack_b32_f16 v35, v35, v50
	v_fma_f16 v50, v56, s2, v49
	v_fma_f16 v58, v46, s3, v57
	v_pack_b32_f16 v50, v50, v58
	v_lshrrev_b32_e32 v58, 1, v0
	v_mul_u32_u24_e32 v58, 6, v58
	v_or_b32_e32 v58, v58, v29
	v_lshl_add_u32 v58, v58, 2, 0
	ds_write2_b32 v58, v35, v50 offset1:2
	v_fma_f16 v35, v56, s3, v49
	v_fma_f16 v46, v46, s2, v57
	v_pack_b32_f16 v35, v35, v46
	ds_write_b32 v58, v35 offset:16
	v_lshrrev_b32_e32 v35, 16, v33
	v_add_f16_e32 v50, v52, v51
	v_add_f16_e32 v46, v35, v52
	v_fma_f16 v35, v50, -0.5, v35
	v_add_f16_e32 v50, v37, v36
	v_fma_f16 v50, v50, -0.5, v33
	v_add_f16_e32 v33, v33, v37
	v_add_f16_e32 v33, v33, v36
	v_sub_f16_e32 v36, v37, v36
	v_lshrrev_b32_e32 v37, 1, v4
	v_mul_lo_u32 v37, v37, 6
	v_add_f16_e32 v46, v46, v51
	v_sub_f16_e32 v49, v52, v51
	v_pack_b32_f16 v33, v33, v46
	v_fma_f16 v46, v49, s2, v50
	v_fma_f16 v51, v36, s3, v35
	v_or_b32_e32 v37, v37, v29
	v_pack_b32_f16 v46, v46, v51
	v_lshl_add_u32 v37, v37, 2, 0
	ds_write2_b32 v37, v33, v46 offset1:2
	v_fma_f16 v33, v49, s3, v50
	v_fma_f16 v35, v36, s2, v35
	v_pack_b32_f16 v33, v33, v35
	ds_write_b32 v37, v33 offset:16
	v_lshrrev_b32_e32 v33, 16, v43
	v_add_f16_e32 v37, v53, v48
	v_add_f16_e32 v35, v33, v53
	v_fma_f16 v33, v37, -0.5, v33
	v_add_f16_e32 v37, v38, v39
	v_fma_f16 v37, v37, -0.5, v43
	v_add_f16_e32 v43, v43, v38
	v_add_f16_e32 v43, v43, v39
	v_sub_f16_e32 v38, v38, v39
	v_lshrrev_b32_e32 v39, 1, v12
	v_mul_lo_u32 v39, v39, 6
	v_add_f16_e32 v35, v35, v48
	v_sub_f16_e32 v36, v53, v48
	v_pack_b32_f16 v35, v43, v35
	v_fma_f16 v43, v36, s2, v37
	v_fma_f16 v46, v38, s3, v33
	v_or_b32_e32 v39, v39, v29
	v_pack_b32_f16 v43, v43, v46
	v_lshl_add_u32 v39, v39, 2, 0
	ds_write2_b32 v39, v35, v43 offset1:2
	v_fma_f16 v35, v36, s3, v37
	v_fma_f16 v33, v38, s2, v33
	v_pack_b32_f16 v33, v35, v33
	ds_write_b32 v39, v33 offset:16
	v_lshrrev_b32_e32 v33, 16, v44
	v_add_f16_e32 v35, v33, v55
	v_add_f16_e32 v38, v44, v41
	;; [unrolled: 1-line block ×4, first 2 shown]
	v_pack_b32_f16 v35, v38, v35
	v_lshrrev_b32_e32 v38, 1, v9
	v_mul_lo_u32 v38, v38, 6
	v_add_f16_e32 v37, v55, v54
	v_fma_f16 v33, v37, -0.5, v33
	v_add_f16_e32 v37, v41, v40
	v_sub_f16_e32 v36, v55, v54
	v_fma_f16 v37, v37, -0.5, v44
	v_sub_f16_e32 v39, v41, v40
	v_fma_f16 v40, v36, s2, v37
	v_fma_f16 v41, v39, s3, v33
	v_or_b32_e32 v38, v38, v29
	v_pack_b32_f16 v40, v40, v41
	v_lshl_add_u32 v38, v38, 2, 0
	ds_write2_b32 v38, v35, v40 offset1:2
	v_fma_f16 v35, v36, s3, v37
	v_fma_f16 v33, v39, s2, v33
	v_pack_b32_f16 v33, v35, v33
	ds_write_b32 v38, v33 offset:16
	v_lshrrev_b32_e32 v33, 16, v45
	v_add_f16_e32 v35, v33, v27
	v_sub_f16_e32 v36, v27, v28
	v_add_f16_e32 v27, v27, v28
	v_fma_f16 v27, v27, -0.5, v33
	v_lshrrev_b32_e32 v33, 1, v6
	v_mul_lo_u32 v33, v33, 6
	v_add_f16_e32 v35, v35, v28
	v_add_f16_e32 v28, v42, v47
	;; [unrolled: 1-line block ×3, first 2 shown]
	v_fma_f16 v28, v28, -0.5, v45
	v_add_f16_e32 v37, v37, v47
	v_sub_f16_e32 v38, v42, v47
	v_or_b32_e32 v29, v33, v29
	v_pack_b32_f16 v33, v37, v35
	v_fma_f16 v35, v36, s2, v28
	v_fma_f16 v37, v38, s3, v27
	;; [unrolled: 1-line block ×4, first 2 shown]
	v_lshl_add_u32 v29, v29, 2, 0
	v_pack_b32_f16 v27, v28, v27
	v_pack_b32_f16 v35, v35, v37
	ds_write_b32 v29, v27 offset:16
	v_mul_lo_u16_sdwa v27, v0, s4 dst_sel:DWORD dst_unused:UNUSED_PAD src0_sel:BYTE_0 src1_sel:DWORD
	ds_write2_b32 v29, v33, v35 offset1:2
	v_lshrrev_b16_e32 v29, 10, v27
	v_mul_lo_u16_e32 v27, 6, v29
	v_sub_u16_e32 v33, v0, v27
	v_mov_b32_e32 v45, 3
	v_lshlrev_b32_sdwa v27, v45, v33 dst_sel:DWORD dst_unused:UNUSED_PAD src0_sel:DWORD src1_sel:BYTE_0
	s_waitcnt lgkmcnt(0)
	s_barrier
	global_load_dwordx2 v[27:28], v27, s[8:9] offset:16
	v_mul_lo_u16_sdwa v35, v4, s4 dst_sel:DWORD dst_unused:UNUSED_PAD src0_sel:BYTE_0 src1_sel:DWORD
	v_lshrrev_b16_e32 v46, 10, v35
	v_mul_lo_u16_e32 v35, 6, v46
	v_sub_u16_e32 v47, v4, v35
	v_lshlrev_b32_sdwa v35, v45, v47 dst_sel:DWORD dst_unused:UNUSED_PAD src0_sel:DWORD src1_sel:BYTE_0
	global_load_dwordx2 v[35:36], v35, s[8:9] offset:16
	s_mov_b32 s4, 0xaaab
	v_mul_u32_u24_sdwa v37, v12, s4 dst_sel:DWORD dst_unused:UNUSED_PAD src0_sel:WORD_0 src1_sel:DWORD
	v_lshrrev_b32_e32 v48, 18, v37
	v_mul_lo_u16_e32 v37, 6, v48
	v_sub_u16_e32 v49, v12, v37
	v_lshlrev_b32_e32 v37, 3, v49
	global_load_dwordx2 v[37:38], v37, s[8:9] offset:16
	v_mul_u32_u24_sdwa v39, v9, s4 dst_sel:DWORD dst_unused:UNUSED_PAD src0_sel:WORD_0 src1_sel:DWORD
	v_lshrrev_b32_e32 v50, 18, v39
	v_mul_lo_u16_e32 v39, 6, v50
	v_sub_u16_e32 v51, v9, v39
	v_lshlrev_b32_e32 v39, 3, v51
	global_load_dwordx2 v[39:40], v39, s[8:9] offset:16
	;; [unrolled: 6-line block ×3, first 2 shown]
	ds_read_b32 v54, v26
	ds_read_b32 v55, v24
	;; [unrolled: 1-line block ×5, first 2 shown]
	ds_read_b32 v59, v30 offset:7056
	ds_read2_b32 v[43:44], v21 offset0:108 offset1:234
	s_waitcnt lgkmcnt(6)
	v_lshrrev_b32_e32 v60, 16, v54
	ds_read_u16 v64, v30 offset:3530
	v_mul_u32_u24_e32 v29, 0x48, v29
	v_mul_u32_u24_e32 v46, 0x48, v46
	s_waitcnt lgkmcnt(1)
	v_lshrrev_b32_e32 v62, 16, v44
	s_mov_b32 s4, 0xe38f
	s_waitcnt vmcnt(4)
	v_mul_f16_sdwa v61, v27, v60 dst_sel:DWORD dst_unused:UNUSED_PAD src0_sel:WORD_1 src1_sel:DWORD
	v_fma_f16 v61, v27, v54, -v61
	v_mul_f16_sdwa v54, v27, v54 dst_sel:DWORD dst_unused:UNUSED_PAD src0_sel:WORD_1 src1_sel:DWORD
	v_fma_f16 v54, v27, v60, v54
	v_lshrrev_b32_e32 v27, 16, v43
	v_mul_f16_sdwa v60, v28, v43 dst_sel:DWORD dst_unused:UNUSED_PAD src0_sel:WORD_1 src1_sel:DWORD
	v_fma_f16 v60, v28, v27, v60
	v_mul_f16_sdwa v27, v28, v27 dst_sel:DWORD dst_unused:UNUSED_PAD src0_sel:WORD_1 src1_sel:DWORD
	v_fma_f16 v43, v28, v43, -v27
	ds_read2_b32 v[27:28], v18 offset0:116 offset1:242
	s_waitcnt vmcnt(3)
	v_mul_f16_sdwa v63, v36, v62 dst_sel:DWORD dst_unused:UNUSED_PAD src0_sel:WORD_1 src1_sel:DWORD
	v_fma_f16 v63, v36, v44, -v63
	v_mul_f16_sdwa v44, v36, v44 dst_sel:DWORD dst_unused:UNUSED_PAD src0_sel:WORD_1 src1_sel:DWORD
	v_fma_f16 v44, v36, v62, v44
	s_waitcnt lgkmcnt(0)
	v_lshrrev_b32_e32 v36, 16, v27
	v_mul_f16_sdwa v62, v35, v27 dst_sel:DWORD dst_unused:UNUSED_PAD src0_sel:WORD_1 src1_sel:DWORD
	v_fma_f16 v62, v35, v36, v62
	v_mul_f16_sdwa v36, v35, v36 dst_sel:DWORD dst_unused:UNUSED_PAD src0_sel:WORD_1 src1_sel:DWORD
	v_fma_f16 v65, v35, v27, -v36
	ds_read2_b32 v[35:36], v19 offset0:104 offset1:230
	ds_read_b32 v66, v30
	s_waitcnt vmcnt(2)
	v_mul_f16_sdwa v27, v64, v37 dst_sel:DWORD dst_unused:UNUSED_PAD src0_sel:DWORD src1_sel:WORD_1
	v_fma_f16 v67, v37, v28, -v27
	v_mul_f16_sdwa v27, v37, v28 dst_sel:DWORD dst_unused:UNUSED_PAD src0_sel:WORD_1 src1_sel:DWORD
	v_fma_f16 v37, v64, v37, v27
	s_waitcnt lgkmcnt(1)
	v_lshrrev_b32_e32 v27, 16, v35
	v_mul_f16_sdwa v28, v35, v38 dst_sel:DWORD dst_unused:UNUSED_PAD src0_sel:DWORD src1_sel:WORD_1
	v_fma_f16 v64, v27, v38, v28
	v_mul_f16_sdwa v27, v27, v38 dst_sel:DWORD dst_unused:UNUSED_PAD src0_sel:DWORD src1_sel:WORD_1
	v_fma_f16 v38, v35, v38, -v27
	ds_read2_b32 v[27:28], v20 offset0:112 offset1:238
	v_lshrrev_b32_e32 v35, 16, v36
	s_waitcnt vmcnt(1)
	v_mul_f16_sdwa v68, v35, v40 dst_sel:DWORD dst_unused:UNUSED_PAD src0_sel:DWORD src1_sel:WORD_1
	v_fma_f16 v68, v36, v40, -v68
	v_mul_f16_sdwa v36, v36, v40 dst_sel:DWORD dst_unused:UNUSED_PAD src0_sel:DWORD src1_sel:WORD_1
	v_fma_f16 v36, v35, v40, v36
	s_waitcnt lgkmcnt(0)
	v_lshrrev_b32_e32 v35, 16, v27
	v_mul_f16_sdwa v40, v27, v39 dst_sel:DWORD dst_unused:UNUSED_PAD src0_sel:DWORD src1_sel:WORD_1
	v_fma_f16 v40, v35, v39, v40
	v_mul_f16_sdwa v35, v35, v39 dst_sel:DWORD dst_unused:UNUSED_PAD src0_sel:DWORD src1_sel:WORD_1
	v_fma_f16 v27, v27, v39, -v35
	v_lshrrev_b32_e32 v35, 16, v28
	s_waitcnt vmcnt(0)
	v_mul_f16_sdwa v39, v35, v41 dst_sel:DWORD dst_unused:UNUSED_PAD src0_sel:DWORD src1_sel:WORD_1
	v_fma_f16 v39, v28, v41, -v39
	v_mul_f16_sdwa v28, v28, v41 dst_sel:DWORD dst_unused:UNUSED_PAD src0_sel:DWORD src1_sel:WORD_1
	v_fma_f16 v28, v35, v41, v28
	v_lshrrev_b32_e32 v35, 16, v59
	v_mul_f16_sdwa v41, v35, v42 dst_sel:DWORD dst_unused:UNUSED_PAD src0_sel:DWORD src1_sel:WORD_1
	v_fma_f16 v41, v59, v42, -v41
	v_mul_f16_sdwa v59, v59, v42 dst_sel:DWORD dst_unused:UNUSED_PAD src0_sel:DWORD src1_sel:WORD_1
	v_fma_f16 v42, v35, v42, v59
	v_lshrrev_b32_e32 v35, 16, v66
	v_add_f16_e32 v59, v35, v54
	v_sub_f16_e32 v69, v54, v60
	v_add_f16_e32 v54, v54, v60
	v_fma_f16 v54, v54, -0.5, v35
	v_add_f16_e32 v35, v61, v43
	v_add_f16_e32 v59, v59, v60
	v_fma_f16 v60, v35, -0.5, v66
	v_add_f16_e32 v35, v66, v61
	v_add_f16_e32 v66, v35, v43
	v_mov_b32_e32 v35, 2
	v_sub_f16_e32 v43, v61, v43
	v_lshlrev_b32_sdwa v33, v35, v33 dst_sel:DWORD dst_unused:UNUSED_PAD src0_sel:DWORD src1_sel:BYTE_0
	v_add3_u32 v29, 0, v29, v33
	v_pack_b32_f16 v33, v66, v59
	v_fma_f16 v59, v69, s2, v60
	v_fma_f16 v61, v43, s3, v54
	v_pack_b32_f16 v59, v59, v61
	s_barrier
	ds_write2_b32 v29, v33, v59 offset1:6
	v_fma_f16 v33, v69, s3, v60
	v_fma_f16 v43, v43, s2, v54
	v_pack_b32_f16 v33, v33, v43
	ds_write_b32 v29, v33 offset:48
	v_lshrrev_b32_e32 v29, 16, v55
	v_add_f16_e32 v33, v29, v62
	v_add_f16_e32 v33, v33, v44
	v_sub_f16_e32 v43, v62, v44
	v_add_f16_e32 v44, v62, v44
	v_fma_f16 v29, v44, -0.5, v29
	v_add_f16_e32 v44, v65, v63
	v_add_f16_e32 v54, v55, v65
	v_fma_f16 v44, v44, -0.5, v55
	v_add_f16_e32 v54, v54, v63
	v_sub_f16_e32 v55, v65, v63
	v_lshlrev_b32_sdwa v47, v35, v47 dst_sel:DWORD dst_unused:UNUSED_PAD src0_sel:DWORD src1_sel:BYTE_0
	v_add3_u32 v46, 0, v46, v47
	v_pack_b32_f16 v33, v54, v33
	v_fma_f16 v47, v43, s2, v44
	v_fma_f16 v54, v55, s3, v29
	v_pack_b32_f16 v47, v47, v54
	ds_write2_b32 v46, v33, v47 offset1:6
	v_fma_f16 v33, v43, s3, v44
	v_fma_f16 v29, v55, s2, v29
	v_pack_b32_f16 v29, v33, v29
	ds_write_b32 v46, v29 offset:48
	v_lshrrev_b32_e32 v29, 16, v56
	v_add_f16_e32 v33, v29, v37
	v_sub_f16_e32 v43, v37, v64
	v_add_f16_e32 v37, v37, v64
	v_fma_f16 v29, v37, -0.5, v29
	v_add_f16_e32 v37, v67, v38
	v_add_f16_e32 v44, v56, v67
	v_add_f16_e32 v33, v33, v64
	v_fma_f16 v37, v37, -0.5, v56
	v_add_f16_e32 v44, v44, v38
	v_sub_f16_e32 v38, v67, v38
	v_mul_u32_u24_e32 v46, 0x48, v48
	v_lshlrev_b32_e32 v47, 2, v49
	v_add3_u32 v46, 0, v46, v47
	v_pack_b32_f16 v33, v44, v33
	v_fma_f16 v44, v43, s2, v37
	v_fma_f16 v47, v38, s3, v29
	v_pack_b32_f16 v44, v44, v47
	ds_write2_b32 v46, v33, v44 offset1:6
	v_fma_f16 v33, v43, s3, v37
	v_fma_f16 v29, v38, s2, v29
	v_pack_b32_f16 v29, v33, v29
	ds_write_b32 v46, v29 offset:48
	v_lshrrev_b32_e32 v29, 16, v57
	v_add_f16_e32 v33, v29, v40
	v_add_f16_e32 v33, v33, v36
	v_sub_f16_e32 v37, v40, v36
	v_add_f16_e32 v36, v40, v36
	v_fma_f16 v29, v36, -0.5, v29
	v_add_f16_e32 v36, v27, v68
	v_add_f16_e32 v38, v57, v27
	v_fma_f16 v36, v36, -0.5, v57
	v_add_f16_e32 v38, v38, v68
	v_sub_f16_e32 v27, v27, v68
	v_mul_u32_u24_e32 v40, 0x48, v50
	v_lshlrev_b32_e32 v43, 2, v51
	v_add3_u32 v40, 0, v40, v43
	v_pack_b32_f16 v33, v38, v33
	v_fma_f16 v38, v37, s2, v36
	v_fma_f16 v43, v27, s3, v29
	v_pack_b32_f16 v38, v38, v43
	ds_write2_b32 v40, v33, v38 offset1:6
	v_fma_f16 v33, v37, s3, v36
	v_fma_f16 v27, v27, s2, v29
	v_pack_b32_f16 v27, v33, v27
	ds_write_b32 v40, v27 offset:48
	v_lshrrev_b32_e32 v27, 16, v58
	v_add_f16_e32 v29, v27, v28
	v_sub_f16_e32 v33, v28, v42
	v_add_f16_e32 v28, v28, v42
	v_fma_f16 v27, v28, -0.5, v27
	v_add_f16_e32 v28, v39, v41
	v_add_f16_e32 v36, v58, v39
	;; [unrolled: 1-line block ×3, first 2 shown]
	v_fma_f16 v28, v28, -0.5, v58
	v_add_f16_e32 v36, v36, v41
	v_sub_f16_e32 v37, v39, v41
	v_mul_u32_u24_e32 v38, 0x48, v52
	v_lshlrev_b32_e32 v39, 2, v53
	v_add3_u32 v38, 0, v38, v39
	v_pack_b32_f16 v29, v36, v29
	v_fma_f16 v36, v33, s2, v28
	v_fma_f16 v39, v37, s3, v27
	v_pack_b32_f16 v36, v36, v39
	v_fma_f16 v28, v33, s3, v28
	v_fma_f16 v27, v37, s2, v27
	ds_write2_b32 v38, v29, v36 offset1:6
	v_pack_b32_f16 v27, v28, v27
	v_mov_b32_e32 v29, 57
	ds_write_b32 v38, v27 offset:48
	v_mul_lo_u16_sdwa v27, v0, v29 dst_sel:DWORD dst_unused:UNUSED_PAD src0_sel:BYTE_0 src1_sel:DWORD
	v_lshrrev_b16_e32 v33, 10, v27
	v_mul_lo_u16_e32 v27, 18, v33
	v_sub_u16_e32 v44, v0, v27
	v_lshlrev_b32_sdwa v27, v45, v44 dst_sel:DWORD dst_unused:UNUSED_PAD src0_sel:DWORD src1_sel:BYTE_0
	s_waitcnt lgkmcnt(0)
	s_barrier
	global_load_dwordx2 v[27:28], v27, s[8:9] offset:64
	v_mul_lo_u16_sdwa v29, v4, v29 dst_sel:DWORD dst_unused:UNUSED_PAD src0_sel:BYTE_0 src1_sel:DWORD
	v_lshrrev_b16_e32 v29, 10, v29
	v_mul_lo_u16_e32 v36, 18, v29
	v_sub_u16_e32 v46, v4, v36
	v_lshlrev_b32_sdwa v36, v45, v46 dst_sel:DWORD dst_unused:UNUSED_PAD src0_sel:DWORD src1_sel:BYTE_0
	global_load_dwordx2 v[36:37], v36, s[8:9] offset:64
	v_mul_u32_u24_sdwa v38, v12, s4 dst_sel:DWORD dst_unused:UNUSED_PAD src0_sel:WORD_0 src1_sel:DWORD
	v_lshrrev_b32_e32 v45, 20, v38
	v_mul_lo_u16_e32 v38, 18, v45
	v_sub_u16_e32 v47, v12, v38
	v_lshlrev_b32_e32 v38, 3, v47
	global_load_dwordx2 v[38:39], v38, s[8:9] offset:64
	v_mul_u32_u24_sdwa v40, v9, s4 dst_sel:DWORD dst_unused:UNUSED_PAD src0_sel:WORD_0 src1_sel:DWORD
	v_lshrrev_b32_e32 v48, 20, v40
	v_mul_lo_u16_e32 v40, 18, v48
	v_sub_u16_e32 v49, v9, v40
	v_lshlrev_b32_e32 v40, 3, v49
	;; [unrolled: 6-line block ×3, first 2 shown]
	global_load_dwordx2 v[42:43], v42, s[8:9] offset:64
	ds_read_b32 v26, v26
	ds_read_b32 v23, v23
	;; [unrolled: 1-line block ×5, first 2 shown]
	ds_read_b32 v55, v30 offset:7056
	ds_read2_b32 v[21:22], v21 offset0:108 offset1:234
	s_waitcnt lgkmcnt(6)
	v_lshrrev_b32_e32 v25, 16, v26
	v_mul_u32_u24_e32 v33, 0xd8, v33
	v_lshlrev_b32_sdwa v44, v35, v44 dst_sel:DWORD dst_unused:UNUSED_PAD src0_sel:DWORD src1_sel:BYTE_0
	v_add3_u32 v33, 0, v33, v44
	v_mul_u32_u24_e32 v29, 0xd8, v29
	s_waitcnt vmcnt(4)
	v_mul_f16_sdwa v56, v27, v25 dst_sel:DWORD dst_unused:UNUSED_PAD src0_sel:WORD_1 src1_sel:DWORD
	v_fma_f16 v56, v27, v26, -v56
	v_mul_f16_sdwa v26, v27, v26 dst_sel:DWORD dst_unused:UNUSED_PAD src0_sel:WORD_1 src1_sel:DWORD
	v_fma_f16 v27, v27, v25, v26
	s_waitcnt lgkmcnt(0)
	v_lshrrev_b32_e32 v25, 16, v21
	v_mul_f16_sdwa v26, v28, v21 dst_sel:DWORD dst_unused:UNUSED_PAD src0_sel:WORD_1 src1_sel:DWORD
	v_fma_f16 v57, v28, v25, v26
	v_mul_f16_sdwa v25, v28, v25 dst_sel:DWORD dst_unused:UNUSED_PAD src0_sel:WORD_1 src1_sel:DWORD
	v_fma_f16 v28, v28, v21, -v25
	ds_read2_b32 v[25:26], v18 offset0:116 offset1:242
	v_lshrrev_b32_e32 v21, 16, v22
	s_waitcnt vmcnt(3)
	v_mul_f16_sdwa v18, v37, v21 dst_sel:DWORD dst_unused:UNUSED_PAD src0_sel:WORD_1 src1_sel:DWORD
	v_fma_f16 v58, v37, v22, -v18
	v_mul_f16_sdwa v18, v37, v22 dst_sel:DWORD dst_unused:UNUSED_PAD src0_sel:WORD_1 src1_sel:DWORD
	v_fma_f16 v22, v37, v21, v18
	s_waitcnt lgkmcnt(0)
	v_lshrrev_b32_e32 v18, 16, v25
	v_mul_f16_sdwa v21, v36, v25 dst_sel:DWORD dst_unused:UNUSED_PAD src0_sel:WORD_1 src1_sel:DWORD
	v_fma_f16 v37, v36, v18, v21
	ds_read_u16 v21, v30 offset:3530
	v_mul_f16_sdwa v18, v36, v18 dst_sel:DWORD dst_unused:UNUSED_PAD src0_sel:WORD_1 src1_sel:DWORD
	v_fma_f16 v25, v36, v25, -v18
	ds_read2_b32 v[18:19], v19 offset0:104 offset1:230
	ds_read_b32 v36, v30
	v_sub_f16_e32 v61, v27, v57
	s_waitcnt vmcnt(2) lgkmcnt(2)
	v_mul_f16_sdwa v59, v21, v38 dst_sel:DWORD dst_unused:UNUSED_PAD src0_sel:DWORD src1_sel:WORD_1
	v_fma_f16 v59, v38, v26, -v59
	v_mul_f16_sdwa v26, v38, v26 dst_sel:DWORD dst_unused:UNUSED_PAD src0_sel:WORD_1 src1_sel:DWORD
	v_fma_f16 v26, v21, v38, v26
	s_waitcnt lgkmcnt(1)
	v_lshrrev_b32_e32 v21, 16, v18
	v_mul_f16_sdwa v38, v18, v39 dst_sel:DWORD dst_unused:UNUSED_PAD src0_sel:DWORD src1_sel:WORD_1
	v_fma_f16 v38, v21, v39, v38
	v_mul_f16_sdwa v21, v21, v39 dst_sel:DWORD dst_unused:UNUSED_PAD src0_sel:DWORD src1_sel:WORD_1
	v_fma_f16 v18, v18, v39, -v21
	ds_read2_b32 v[20:21], v20 offset0:112 offset1:238
	v_lshrrev_b32_e32 v39, 16, v19
	s_waitcnt vmcnt(1)
	v_mul_f16_sdwa v60, v39, v41 dst_sel:DWORD dst_unused:UNUSED_PAD src0_sel:DWORD src1_sel:WORD_1
	v_fma_f16 v60, v19, v41, -v60
	v_mul_f16_sdwa v19, v19, v41 dst_sel:DWORD dst_unused:UNUSED_PAD src0_sel:DWORD src1_sel:WORD_1
	v_fma_f16 v19, v39, v41, v19
	s_waitcnt lgkmcnt(0)
	v_lshrrev_b32_e32 v39, 16, v20
	v_mul_f16_sdwa v41, v20, v40 dst_sel:DWORD dst_unused:UNUSED_PAD src0_sel:DWORD src1_sel:WORD_1
	v_fma_f16 v41, v39, v40, v41
	v_mul_f16_sdwa v39, v39, v40 dst_sel:DWORD dst_unused:UNUSED_PAD src0_sel:DWORD src1_sel:WORD_1
	v_fma_f16 v20, v20, v40, -v39
	v_lshrrev_b32_e32 v39, 16, v21
	s_waitcnt vmcnt(0)
	v_mul_f16_sdwa v40, v39, v42 dst_sel:DWORD dst_unused:UNUSED_PAD src0_sel:DWORD src1_sel:WORD_1
	v_fma_f16 v40, v21, v42, -v40
	v_mul_f16_sdwa v21, v21, v42 dst_sel:DWORD dst_unused:UNUSED_PAD src0_sel:DWORD src1_sel:WORD_1
	v_fma_f16 v21, v39, v42, v21
	v_lshrrev_b32_e32 v39, 16, v55
	v_mul_f16_sdwa v42, v39, v43 dst_sel:DWORD dst_unused:UNUSED_PAD src0_sel:DWORD src1_sel:WORD_1
	v_fma_f16 v42, v55, v43, -v42
	v_mul_f16_sdwa v55, v55, v43 dst_sel:DWORD dst_unused:UNUSED_PAD src0_sel:DWORD src1_sel:WORD_1
	v_fma_f16 v39, v39, v43, v55
	v_lshrrev_b32_e32 v43, 16, v36
	v_add_f16_e32 v55, v43, v27
	v_add_f16_e32 v27, v27, v57
	v_fma_f16 v27, v27, -0.5, v43
	v_add_f16_e32 v43, v56, v28
	v_fma_f16 v43, v43, -0.5, v36
	v_add_f16_e32 v36, v36, v56
	v_add_f16_e32 v55, v55, v57
	;; [unrolled: 1-line block ×3, first 2 shown]
	v_sub_f16_e32 v28, v56, v28
	v_pack_b32_f16 v36, v36, v55
	v_fma_f16 v44, v61, s2, v43
	v_fma_f16 v55, v28, s3, v27
	v_pack_b32_f16 v44, v44, v55
	s_barrier
	ds_write2_b32 v33, v36, v44 offset1:18
	v_fma_f16 v36, v61, s3, v43
	v_fma_f16 v27, v28, s2, v27
	v_pack_b32_f16 v27, v36, v27
	ds_write_b32 v33, v27 offset:144
	v_lshrrev_b32_e32 v27, 16, v54
	v_add_f16_e32 v28, v27, v37
	v_add_f16_e32 v28, v28, v22
	v_sub_f16_e32 v33, v37, v22
	v_add_f16_e32 v22, v37, v22
	v_fma_f16 v22, v22, -0.5, v27
	v_add_f16_e32 v27, v25, v58
	v_add_f16_e32 v36, v54, v25
	v_fma_f16 v27, v27, -0.5, v54
	v_add_f16_e32 v36, v36, v58
	v_sub_f16_e32 v25, v25, v58
	v_lshlrev_b32_sdwa v37, v35, v46 dst_sel:DWORD dst_unused:UNUSED_PAD src0_sel:DWORD src1_sel:BYTE_0
	v_add3_u32 v29, 0, v29, v37
	v_pack_b32_f16 v28, v36, v28
	v_fma_f16 v36, v33, s2, v27
	v_fma_f16 v37, v25, s3, v22
	;; [unrolled: 1-line block ×4, first 2 shown]
	v_pack_b32_f16 v22, v27, v22
	ds_write_b32 v29, v22 offset:144
	v_lshrrev_b32_e32 v22, 16, v53
	v_pack_b32_f16 v36, v36, v37
	v_add_f16_e32 v25, v22, v26
	v_sub_f16_e32 v27, v26, v38
	v_add_f16_e32 v26, v26, v38
	ds_write2_b32 v29, v28, v36 offset1:18
	v_fma_f16 v22, v26, -0.5, v22
	v_add_f16_e32 v26, v59, v18
	v_add_f16_e32 v28, v53, v59
	;; [unrolled: 1-line block ×3, first 2 shown]
	v_fma_f16 v26, v26, -0.5, v53
	v_add_f16_e32 v28, v28, v18
	v_sub_f16_e32 v18, v59, v18
	v_mul_u32_u24_e32 v29, 0xd8, v45
	v_lshlrev_b32_e32 v33, 2, v47
	v_add3_u32 v29, 0, v29, v33
	v_pack_b32_f16 v25, v28, v25
	v_fma_f16 v28, v27, s2, v26
	v_fma_f16 v33, v18, s3, v22
	v_pack_b32_f16 v28, v28, v33
	ds_write2_b32 v29, v25, v28 offset1:18
	v_fma_f16 v25, v27, s3, v26
	v_fma_f16 v18, v18, s2, v22
	v_pack_b32_f16 v18, v25, v18
	ds_write_b32 v29, v18 offset:144
	v_lshrrev_b32_e32 v18, 16, v23
	v_add_f16_e32 v22, v18, v41
	v_add_f16_e32 v22, v22, v19
	v_sub_f16_e32 v25, v41, v19
	v_add_f16_e32 v19, v41, v19
	v_fma_f16 v18, v19, -0.5, v18
	v_add_f16_e32 v19, v20, v60
	v_fma_f16 v19, v19, -0.5, v23
	v_add_f16_e32 v23, v23, v20
	v_add_f16_e32 v23, v23, v60
	v_sub_f16_e32 v20, v20, v60
	v_mul_u32_u24_e32 v26, 0xd8, v48
	v_lshlrev_b32_e32 v27, 2, v49
	v_add3_u32 v26, 0, v26, v27
	v_pack_b32_f16 v22, v23, v22
	v_fma_f16 v23, v25, s2, v19
	v_fma_f16 v27, v20, s3, v18
	;; [unrolled: 1-line block ×4, first 2 shown]
	v_pack_b32_f16 v18, v19, v18
	ds_write_b32 v26, v18 offset:144
	v_lshrrev_b32_e32 v18, 16, v52
	v_add_f16_e32 v19, v18, v21
	v_sub_f16_e32 v20, v21, v39
	v_add_f16_e32 v21, v21, v39
	v_pack_b32_f16 v23, v23, v27
	v_fma_f16 v18, v21, -0.5, v18
	v_add_f16_e32 v21, v40, v42
	ds_write2_b32 v26, v22, v23 offset1:18
	v_fma_f16 v21, v21, -0.5, v52
	v_add_f16_e32 v22, v52, v40
	v_sub_f16_e32 v23, v40, v42
	v_add_f16_e32 v19, v19, v39
	v_add_f16_e32 v22, v22, v42
	v_mul_u32_u24_e32 v25, 0xd8, v50
	v_lshlrev_b32_e32 v26, 2, v51
	v_fma_f16 v37, v20, s3, v21
	v_fma_f16 v38, v23, s2, v18
	v_add3_u32 v25, 0, v25, v26
	v_pack_b32_f16 v19, v22, v19
	v_fma_f16 v22, v20, s2, v21
	v_fma_f16 v26, v23, s3, v18
	v_pack_b32_f16 v18, v37, v38
	v_pack_b32_f16 v22, v22, v26
	ds_write_b32 v25, v18 offset:144
	v_add_u32_e32 v18, 0x400, v30
	ds_write2_b32 v25, v19, v22 offset1:18
	s_waitcnt lgkmcnt(0)
	s_barrier
	ds_read2_b32 v[22:23], v18 offset0:14 offset1:140
	ds_read_b32 v49, v30
	ds_read_b32 v48, v24
	v_add_u32_e32 v18, 0x800, v30
	ds_read2_b32 v[28:29], v18 offset0:28 offset1:154
	v_add_u32_e32 v18, 0xc00, v30
	ds_read2_b32 v[26:27], v18 offset0:42 offset1:168
	;; [unrolled: 2-line block ×5, first 2 shown]
	v_sub_u32_e32 v33, 0, v17
	v_add_u32_e32 v33, v16, v33
	v_cmp_gt_u32_e64 s[2:3], 18, v0
                                        ; implicit-def: $vgpr39
                                        ; implicit-def: $vgpr16
                                        ; implicit-def: $vgpr42
                                        ; implicit-def: $vgpr40
                                        ; implicit-def: $vgpr47
                                        ; implicit-def: $vgpr46
                                        ; implicit-def: $vgpr44
                                        ; implicit-def: $vgpr43
                                        ; implicit-def: $vgpr45
                                        ; implicit-def: $vgpr41
	s_and_saveexec_b64 s[4:5], s[2:3]
	s_cbranch_execz .LBB0_17
; %bb.16:
	ds_read_b32 v37, v33
	ds_read_b32 v14, v30 offset:2088
	ds_read_b32 v16, v30 offset:3168
	;; [unrolled: 1-line block ×6, first 2 shown]
	s_waitcnt lgkmcnt(6)
	v_lshrrev_b32_e32 v38, 16, v37
	s_waitcnt lgkmcnt(4)
	v_lshrrev_b32_e32 v39, 16, v16
	;; [unrolled: 2-line block ×6, first 2 shown]
.LBB0_17:
	s_or_b64 exec, exec, s[4:5]
	v_mov_b32_e32 v66, 19
	v_mul_lo_u16_sdwa v50, v0, v66 dst_sel:DWORD dst_unused:UNUSED_PAD src0_sel:BYTE_0 src1_sel:DWORD
	v_lshrrev_b16_e32 v67, 10, v50
	v_mul_lo_u16_e32 v50, 54, v67
	v_sub_u16_e32 v68, v0, v50
	v_mov_b32_e32 v69, 6
	v_mul_u32_u24_sdwa v50, v68, v69 dst_sel:DWORD dst_unused:UNUSED_PAD src0_sel:BYTE_0 src1_sel:DWORD
	v_lshlrev_b32_e32 v70, 2, v50
	global_load_dwordx4 v[50:53], v70, s[8:9] offset:208
	s_waitcnt lgkmcnt(7)
	v_lshrrev_b32_e32 v58, 16, v22
	s_waitcnt lgkmcnt(4)
	v_lshrrev_b32_e32 v59, 16, v28
	;; [unrolled: 2-line block ×6, first 2 shown]
	v_lshrrev_b32_e32 v64, 16, v23
	v_lshrrev_b32_e32 v65, 16, v29
	;; [unrolled: 1-line block ×6, first 2 shown]
	s_movk_i32 s11, 0x2b26
	s_movk_i32 s6, 0x3b00
	s_mov_b32 s10, 0xbcab
	s_movk_i32 s7, 0x39e0
	s_mov_b32 s15, 0xb9e0
	;; [unrolled: 2-line block ×3, first 2 shown]
	s_movk_i32 s14, 0x370e
	v_sub_u32_e32 v36, 0, v15
	v_sub_u32_e32 v34, 0, v34
	s_waitcnt vmcnt(0)
	v_mul_f16_sdwa v71, v50, v58 dst_sel:DWORD dst_unused:UNUSED_PAD src0_sel:WORD_1 src1_sel:DWORD
	v_fma_f16 v71, v50, v22, -v71
	v_mul_f16_sdwa v22, v50, v22 dst_sel:DWORD dst_unused:UNUSED_PAD src0_sel:WORD_1 src1_sel:DWORD
	v_fma_f16 v58, v50, v58, v22
	v_mul_f16_sdwa v22, v51, v59 dst_sel:DWORD dst_unused:UNUSED_PAD src0_sel:WORD_1 src1_sel:DWORD
	v_fma_f16 v72, v51, v28, -v22
	v_mul_f16_sdwa v22, v51, v28 dst_sel:DWORD dst_unused:UNUSED_PAD src0_sel:WORD_1 src1_sel:DWORD
	v_fma_f16 v28, v51, v59, v22
	global_load_dwordx2 v[50:51], v70, s[8:9] offset:224
	v_mul_f16_sdwa v22, v52, v60 dst_sel:DWORD dst_unused:UNUSED_PAD src0_sel:WORD_1 src1_sel:DWORD
	v_fma_f16 v59, v52, v26, -v22
	v_mul_f16_sdwa v22, v52, v26 dst_sel:DWORD dst_unused:UNUSED_PAD src0_sel:WORD_1 src1_sel:DWORD
	v_fma_f16 v26, v52, v60, v22
	v_mul_f16_sdwa v22, v53, v61 dst_sel:DWORD dst_unused:UNUSED_PAD src0_sel:WORD_1 src1_sel:DWORD
	v_fma_f16 v60, v53, v24, -v22
	v_mul_f16_sdwa v22, v53, v24 dst_sel:DWORD dst_unused:UNUSED_PAD src0_sel:WORD_1 src1_sel:DWORD
	v_fma_f16 v24, v53, v61, v22
	s_waitcnt vmcnt(0)
	v_mul_f16_sdwa v22, v50, v62 dst_sel:DWORD dst_unused:UNUSED_PAD src0_sel:WORD_1 src1_sel:DWORD
	v_fma_f16 v61, v50, v20, -v22
	v_mul_f16_sdwa v20, v50, v20 dst_sel:DWORD dst_unused:UNUSED_PAD src0_sel:WORD_1 src1_sel:DWORD
	v_mul_f16_sdwa v22, v51, v63 dst_sel:DWORD dst_unused:UNUSED_PAD src0_sel:WORD_1 src1_sel:DWORD
	v_fma_f16 v20, v50, v62, v20
	v_fma_f16 v62, v51, v18, -v22
	v_mul_f16_sdwa v18, v51, v18 dst_sel:DWORD dst_unused:UNUSED_PAD src0_sel:WORD_1 src1_sel:DWORD
	v_mul_lo_u16_sdwa v22, v4, v66 dst_sel:DWORD dst_unused:UNUSED_PAD src0_sel:BYTE_0 src1_sel:DWORD
	v_fma_f16 v18, v51, v63, v18
	v_lshrrev_b16_e32 v63, 10, v22
	v_mul_lo_u16_e32 v22, 54, v63
	v_sub_u16_e32 v66, v4, v22
	v_mul_u32_u24_sdwa v22, v66, v69 dst_sel:DWORD dst_unused:UNUSED_PAD src0_sel:BYTE_0 src1_sel:DWORD
	v_lshlrev_b32_e32 v22, 2, v22
	global_load_dwordx4 v[50:53], v22, s[8:9] offset:208
	s_waitcnt vmcnt(0)
	v_mul_f16_sdwa v69, v50, v64 dst_sel:DWORD dst_unused:UNUSED_PAD src0_sel:WORD_1 src1_sel:DWORD
	v_fma_f16 v69, v50, v23, -v69
	v_mul_f16_sdwa v23, v50, v23 dst_sel:DWORD dst_unused:UNUSED_PAD src0_sel:WORD_1 src1_sel:DWORD
	v_fma_f16 v50, v50, v64, v23
	v_mul_f16_sdwa v23, v51, v65 dst_sel:DWORD dst_unused:UNUSED_PAD src0_sel:WORD_1 src1_sel:DWORD
	v_fma_f16 v64, v51, v29, -v23
	v_mul_f16_sdwa v23, v51, v29 dst_sel:DWORD dst_unused:UNUSED_PAD src0_sel:WORD_1 src1_sel:DWORD
	v_fma_f16 v29, v51, v65, v23
	v_mul_f16_sdwa v23, v54, v52 dst_sel:DWORD dst_unused:UNUSED_PAD src0_sel:DWORD src1_sel:WORD_1
	v_fma_f16 v51, v27, v52, -v23
	v_mul_f16_sdwa v23, v27, v52 dst_sel:DWORD dst_unused:UNUSED_PAD src0_sel:DWORD src1_sel:WORD_1
	v_fma_f16 v27, v54, v52, v23
	v_mul_f16_sdwa v23, v55, v53 dst_sel:DWORD dst_unused:UNUSED_PAD src0_sel:DWORD src1_sel:WORD_1
	v_fma_f16 v52, v25, v53, -v23
	v_mul_f16_sdwa v23, v25, v53 dst_sel:DWORD dst_unused:UNUSED_PAD src0_sel:DWORD src1_sel:WORD_1
	v_fma_f16 v25, v55, v53, v23
	global_load_dwordx2 v[22:23], v22, s[8:9] offset:224
	v_add_f16_e32 v54, v58, v18
	v_sub_f16_e32 v55, v71, v62
	v_sub_f16_e32 v18, v58, v18
	;; [unrolled: 1-line block ×3, first 2 shown]
	s_waitcnt vmcnt(0)
	s_barrier
	v_mul_f16_sdwa v53, v56, v22 dst_sel:DWORD dst_unused:UNUSED_PAD src0_sel:DWORD src1_sel:WORD_1
	v_fma_f16 v53, v21, v22, -v53
	v_mul_f16_sdwa v21, v21, v22 dst_sel:DWORD dst_unused:UNUSED_PAD src0_sel:DWORD src1_sel:WORD_1
	v_fma_f16 v21, v56, v22, v21
	v_mul_f16_sdwa v22, v57, v23 dst_sel:DWORD dst_unused:UNUSED_PAD src0_sel:DWORD src1_sel:WORD_1
	v_fma_f16 v22, v19, v23, -v22
	v_mul_f16_sdwa v19, v19, v23 dst_sel:DWORD dst_unused:UNUSED_PAD src0_sel:DWORD src1_sel:WORD_1
	v_fma_f16 v19, v57, v23, v19
	v_add_f16_e32 v23, v71, v62
	v_add_f16_e32 v56, v72, v61
	;; [unrolled: 1-line block ×3, first 2 shown]
	v_sub_f16_e32 v20, v28, v20
	v_add_f16_e32 v28, v59, v60
	v_add_f16_e32 v61, v26, v24
	v_sub_f16_e32 v59, v60, v59
	v_sub_f16_e32 v24, v24, v26
	v_add_f16_e32 v26, v56, v23
	v_add_f16_e32 v60, v57, v54
	v_sub_f16_e32 v62, v56, v23
	v_sub_f16_e32 v65, v57, v54
	;; [unrolled: 1-line block ×6, first 2 shown]
	v_add_f16_e32 v70, v59, v58
	v_add_f16_e32 v71, v24, v20
	v_sub_f16_e32 v72, v59, v58
	v_sub_f16_e32 v73, v24, v20
	;; [unrolled: 1-line block ×4, first 2 shown]
	v_add_f16_e32 v26, v28, v26
	v_add_f16_e32 v28, v61, v60
	v_sub_f16_e32 v59, v55, v59
	v_sub_f16_e32 v24, v18, v24
	v_add_f16_e32 v55, v70, v55
	v_add_f16_e32 v18, v71, v18
	v_add_f16_e32 v60, v26, v49
	v_add_f16_sdwa v49, v28, v49 dst_sel:DWORD dst_unused:UNUSED_PAD src0_sel:DWORD src1_sel:WORD_1
	v_mul_f16_e32 v23, 0x3a52, v23
	v_mul_f16_e32 v54, 0x3a52, v54
	;; [unrolled: 1-line block ×8, first 2 shown]
	v_fma_f16 v26, v26, s10, v60
	v_fma_f16 v28, v28, s10, v49
	;; [unrolled: 1-line block ×4, first 2 shown]
	v_fma_f16 v61, v62, s7, -v61
	v_fma_f16 v70, v65, s7, -v70
	;; [unrolled: 1-line block ×4, first 2 shown]
	v_fma_f16 v62, v59, s16, v71
	v_fma_f16 v65, v24, s16, v72
	v_fma_f16 v58, v58, s6, -v71
	v_fma_f16 v20, v20, s6, -v72
	v_fma_f16 v59, v59, s17, -v73
	v_fma_f16 v24, v24, s17, -v74
	v_add_f16_e32 v56, v56, v26
	v_add_f16_e32 v57, v57, v28
	v_add_f16_e32 v61, v61, v26
	v_add_f16_e32 v70, v70, v28
	v_add_f16_e32 v23, v23, v26
	v_add_f16_e32 v26, v54, v28
	v_fma_f16 v28, v55, s14, v62
	v_fma_f16 v54, v18, s14, v65
	;; [unrolled: 1-line block ×6, first 2 shown]
	v_add_f16_e32 v24, v54, v56
	v_add_f16_e32 v62, v18, v23
	v_sub_f16_e32 v65, v26, v55
	v_sub_f16_e32 v18, v23, v18
	v_add_f16_e32 v23, v55, v26
	v_sub_f16_e32 v26, v56, v54
	v_add_f16_e32 v54, v69, v22
	v_add_f16_e32 v55, v50, v19
	v_sub_f16_e32 v19, v50, v19
	v_add_f16_e32 v50, v64, v53
	;; [unrolled: 3-line block ×3, first 2 shown]
	v_sub_f16_e32 v22, v69, v22
	v_sub_f16_e32 v53, v64, v53
	;; [unrolled: 1-line block ×3, first 2 shown]
	v_add_f16_e32 v29, v51, v52
	v_add_f16_e32 v57, v27, v25
	v_sub_f16_e32 v51, v52, v51
	v_sub_f16_e32 v25, v25, v27
	v_add_f16_e32 v27, v50, v54
	v_add_f16_e32 v52, v56, v55
	v_sub_f16_e32 v71, v61, v20
	v_add_f16_e32 v72, v58, v70
	v_add_f16_e32 v20, v20, v61
	v_sub_f16_e32 v58, v70, v58
	v_sub_f16_e32 v61, v50, v54
	;; [unrolled: 1-line block ×7, first 2 shown]
	v_add_f16_e32 v69, v51, v53
	v_add_f16_e32 v70, v25, v21
	v_sub_f16_e32 v73, v51, v53
	v_sub_f16_e32 v74, v25, v21
	;; [unrolled: 1-line block ×4, first 2 shown]
	v_add_f16_e32 v27, v29, v27
	v_add_f16_e32 v29, v57, v52
	v_sub_f16_e32 v51, v22, v51
	v_sub_f16_e32 v25, v19, v25
	v_add_f16_e32 v22, v69, v22
	v_add_f16_e32 v19, v70, v19
	;; [unrolled: 1-line block ×3, first 2 shown]
	v_add_f16_sdwa v48, v29, v48 dst_sel:DWORD dst_unused:UNUSED_PAD src0_sel:DWORD src1_sel:WORD_1
	v_mul_f16_e32 v54, 0x3a52, v54
	v_mul_f16_e32 v55, 0x3a52, v55
	v_mul_f16_e32 v57, 0x2b26, v50
	v_mul_f16_e32 v69, 0x2b26, v56
	v_mul_f16_e32 v70, 0xb846, v73
	v_mul_f16_e32 v73, 0xb846, v74
	v_mul_f16_e32 v74, 0x3b00, v53
	v_mul_f16_e32 v75, 0x3b00, v21
	v_fma_f16 v27, v27, s10, v52
	v_fma_f16 v29, v29, s10, v48
	;; [unrolled: 1-line block ×4, first 2 shown]
	v_fma_f16 v57, v61, s7, -v57
	v_fma_f16 v69, v64, s7, -v69
	;; [unrolled: 1-line block ×4, first 2 shown]
	v_fma_f16 v61, v51, s16, v70
	v_fma_f16 v64, v25, s16, v73
	v_fma_f16 v53, v53, s6, -v70
	v_fma_f16 v21, v21, s6, -v73
	;; [unrolled: 1-line block ×4, first 2 shown]
	v_add_f16_e32 v50, v50, v27
	v_add_f16_e32 v56, v56, v29
	;; [unrolled: 1-line block ×6, first 2 shown]
	v_fma_f16 v54, v22, s14, v61
	v_fma_f16 v55, v19, s14, v64
	;; [unrolled: 1-line block ×6, first 2 shown]
	v_add_f16_e32 v25, v55, v50
	v_sub_f16_e32 v51, v56, v54
	v_add_f16_e32 v61, v19, v27
	v_sub_f16_e32 v64, v29, v22
	v_sub_f16_e32 v19, v27, v19
	v_add_f16_e32 v22, v22, v29
	v_sub_f16_e32 v27, v50, v55
	v_add_f16_e32 v29, v54, v56
	v_mul_u32_u24_e32 v50, 0x5e8, v67
	v_lshlrev_b32_sdwa v54, v35, v68 dst_sel:DWORD dst_unused:UNUSED_PAD src0_sel:DWORD src1_sel:BYTE_0
	v_add3_u32 v50, 0, v50, v54
	v_pack_b32_f16 v20, v20, v58
	v_pack_b32_f16 v18, v18, v23
	v_add_u32_e32 v23, 0x200, v50
	ds_write2_b32 v23, v20, v18 offset0:88 offset1:142
	v_pack_b32_f16 v18, v26, v28
	v_pack_b32_f16 v49, v60, v49
	;; [unrolled: 1-line block ×3, first 2 shown]
	ds_write_b32 v50, v18 offset:1296
	v_mul_u32_u24_e32 v18, 0x5e8, v63
	v_lshlrev_b32_sdwa v20, v35, v66 dst_sel:DWORD dst_unused:UNUSED_PAD src0_sel:DWORD src1_sel:BYTE_0
	v_sub_f16_e32 v70, v57, v21
	v_add_f16_e32 v73, v53, v69
	ds_write2_b32 v50, v49, v24 offset1:54
	v_pack_b32_f16 v24, v62, v65
	v_pack_b32_f16 v49, v71, v72
	v_add3_u32 v18, 0, v18, v20
	v_pack_b32_f16 v20, v52, v48
	v_pack_b32_f16 v23, v25, v51
	v_add_f16_e32 v21, v21, v57
	v_sub_f16_e32 v53, v69, v53
	ds_write2_b32 v50, v24, v49 offset0:108 offset1:162
	ds_write2_b32 v18, v20, v23 offset1:54
	v_pack_b32_f16 v20, v61, v64
	v_pack_b32_f16 v23, v70, v73
	ds_write2_b32 v18, v20, v23 offset0:108 offset1:162
	v_pack_b32_f16 v20, v21, v53
	v_pack_b32_f16 v19, v19, v22
	v_add_u32_e32 v21, 0x200, v18
	ds_write2_b32 v21, v20, v19 offset0:88 offset1:142
	v_pack_b32_f16 v19, v27, v29
	ds_write_b32 v18, v19 offset:1296
	s_and_saveexec_b64 s[4:5], s[2:3]
	s_cbranch_execz .LBB0_19
; %bb.18:
	v_lshrrev_b16_e32 v18, 1, v12
	v_mul_u32_u24_e32 v18, 0x97b5, v18
	v_lshrrev_b32_e32 v18, 20, v18
	v_mul_lo_u16_e32 v18, 54, v18
	v_sub_u16_e32 v24, v12, v18
	v_mul_u32_u24_e32 v18, 6, v24
	v_lshlrev_b32_e32 v25, 2, v18
	global_load_dwordx4 v[18:21], v25, s[8:9] offset:208
	global_load_dwordx2 v[22:23], v25, s[8:9] offset:224
	v_lshrrev_b32_e32 v25, 16, v14
	v_lshl_add_u32 v24, v24, 2, 0
	s_waitcnt vmcnt(1)
	v_mul_f16_sdwa v26, v25, v18 dst_sel:DWORD dst_unused:UNUSED_PAD src0_sel:DWORD src1_sel:WORD_1
	s_waitcnt vmcnt(0)
	v_mul_f16_sdwa v27, v47, v23 dst_sel:DWORD dst_unused:UNUSED_PAD src0_sel:DWORD src1_sel:WORD_1
	v_mul_f16_sdwa v28, v42, v21 dst_sel:DWORD dst_unused:UNUSED_PAD src0_sel:DWORD src1_sel:WORD_1
	v_mul_f16_sdwa v29, v45, v20 dst_sel:DWORD dst_unused:UNUSED_PAD src0_sel:DWORD src1_sel:WORD_1
	v_mul_f16_sdwa v35, v39, v19 dst_sel:DWORD dst_unused:UNUSED_PAD src0_sel:DWORD src1_sel:WORD_1
	v_mul_f16_sdwa v48, v44, v22 dst_sel:DWORD dst_unused:UNUSED_PAD src0_sel:DWORD src1_sel:WORD_1
	v_mul_f16_sdwa v49, v46, v23 dst_sel:DWORD dst_unused:UNUSED_PAD src0_sel:DWORD src1_sel:WORD_1
	v_mul_f16_sdwa v50, v14, v18 dst_sel:DWORD dst_unused:UNUSED_PAD src0_sel:DWORD src1_sel:WORD_1
	v_mul_f16_sdwa v51, v41, v20 dst_sel:DWORD dst_unused:UNUSED_PAD src0_sel:DWORD src1_sel:WORD_1
	v_mul_f16_sdwa v52, v40, v21 dst_sel:DWORD dst_unused:UNUSED_PAD src0_sel:DWORD src1_sel:WORD_1
	v_mul_f16_sdwa v53, v43, v22 dst_sel:DWORD dst_unused:UNUSED_PAD src0_sel:DWORD src1_sel:WORD_1
	v_mul_f16_sdwa v54, v16, v19 dst_sel:DWORD dst_unused:UNUSED_PAD src0_sel:DWORD src1_sel:WORD_1
	v_fma_f16 v14, v14, v18, -v26
	v_fma_f16 v26, v46, v23, -v27
	;; [unrolled: 1-line block ×6, first 2 shown]
	v_fma_f16 v23, v47, v23, v49
	v_fma_f16 v18, v25, v18, v50
	;; [unrolled: 1-line block ×6, first 2 shown]
	v_sub_f16_e32 v25, v14, v26
	v_sub_f16_e32 v35, v27, v28
	;; [unrolled: 1-line block ×3, first 2 shown]
	v_add_f16_e32 v40, v18, v23
	v_add_f16_e32 v41, v20, v21
	;; [unrolled: 1-line block ×6, first 2 shown]
	v_sub_f16_e32 v18, v18, v23
	v_sub_f16_e32 v20, v21, v20
	v_sub_f16_e32 v19, v19, v22
	v_sub_f16_e32 v22, v35, v39
	v_add_f16_e32 v23, v35, v39
	v_sub_f16_e32 v27, v40, v41
	v_add_f16_e32 v29, v42, v40
	v_add_f16_e32 v44, v16, v14
	v_sub_f16_e32 v21, v25, v35
	v_sub_f16_e32 v28, v41, v42
	;; [unrolled: 1-line block ×6, first 2 shown]
	v_add_f16_e32 v20, v20, v19
	v_sub_f16_e32 v39, v39, v25
	v_sub_f16_e32 v14, v16, v14
	;; [unrolled: 1-line block ×3, first 2 shown]
	v_mul_f16_e32 v19, 0xb846, v22
	v_add_f16_e32 v22, v23, v25
	v_mul_f16_e32 v23, 0x3a52, v27
	v_add_f16_e32 v27, v41, v29
	v_add_f16_e32 v26, v26, v44
	v_sub_f16_e32 v40, v42, v40
	v_mul_f16_e32 v25, 0x2b26, v28
	v_mul_f16_e32 v29, 0x3a52, v35
	;; [unrolled: 1-line block ×4, first 2 shown]
	v_add_f16_e32 v18, v20, v18
	v_mul_f16_e32 v20, 0x3b00, v39
	v_mul_f16_e32 v42, 0x3b00, v16
	v_add_f16_e32 v38, v38, v27
	v_add_f16_e32 v37, v37, v26
	v_fma_f16 v44, v21, s16, v19
	v_fma_f16 v28, v28, s11, v23
	;; [unrolled: 1-line block ×3, first 2 shown]
	v_fma_f16 v20, v21, s17, -v20
	v_fma_f16 v21, v40, s15, -v23
	;; [unrolled: 1-line block ×4, first 2 shown]
	v_fma_f16 v27, v27, s10, v38
	v_fma_f16 v26, v26, s10, v37
	v_fma_f16 v25, v40, s7, -v25
	v_fma_f16 v19, v39, s6, -v19
	;; [unrolled: 1-line block ×4, first 2 shown]
	v_fma_f16 v46, v45, s16, v41
	v_fma_f16 v20, v22, s14, v20
	v_add_f16_e32 v21, v21, v27
	v_add_f16_e32 v23, v23, v26
	v_fma_f16 v29, v18, s14, v29
	v_add_f16_e32 v25, v25, v27
	v_fma_f16 v19, v22, s14, v19
	v_fma_f16 v16, v18, s14, v16
	v_add_f16_e32 v14, v14, v26
	v_fma_f16 v42, v22, s14, v44
	v_fma_f16 v44, v18, s14, v46
	v_add_f16_e32 v47, v20, v21
	v_sub_f16_e32 v22, v25, v19
	v_add_f16_e32 v18, v16, v14
	v_add_f16_e32 v19, v19, v25
	v_sub_f16_e32 v14, v14, v16
	v_sub_f16_e32 v16, v21, v20
	v_add_f16_e32 v20, v29, v23
	v_add_f16_e32 v28, v28, v27
	;; [unrolled: 1-line block ×3, first 2 shown]
	v_sub_f16_e32 v48, v23, v29
	v_pack_b32_f16 v16, v20, v16
	v_pack_b32_f16 v14, v14, v19
	v_add_u32_e32 v19, 0x1800, v24
	v_add_f16_e32 v45, v42, v28
	v_sub_f16_e32 v46, v43, v44
	v_sub_f16_e32 v21, v28, v42
	v_add_f16_e32 v23, v44, v43
	ds_write2_b32 v19, v16, v14 offset0:84 offset1:138
	v_pack_b32_f16 v14, v18, v22
	v_pack_b32_f16 v16, v48, v47
	;; [unrolled: 1-line block ×4, first 2 shown]
	v_add_u32_e32 v23, 0x1600, v24
	ds_write2_b32 v19, v14, v16 offset0:192 offset1:246
	v_pack_b32_f16 v14, v46, v45
	ds_write2_b32 v23, v25, v21 offset0:104 offset1:158
	ds_write_b32 v24, v14 offset:7344
.LBB0_19:
	s_or_b64 exec, exec, s[4:5]
	v_mov_b32_e32 v14, 0
	v_lshlrev_b64 v[18:19], 2, v[13:14]
	v_mov_b32_e32 v16, v14
	v_mov_b32_e32 v27, s9
	v_add_co_u32_e64 v18, s[2:3], s8, v18
	v_lshlrev_b64 v[15:16], 2, v[15:16]
	v_addc_co_u32_e64 v19, s[2:3], v27, v19, s[2:3]
	v_add_co_u32_e64 v15, s[2:3], s8, v15
	v_addc_co_u32_e64 v16, s[2:3], v27, v16, s[2:3]
	s_waitcnt lgkmcnt(0)
	s_barrier
	global_load_dwordx4 v[19:22], v[18:19], off offset:1504
	v_add_u32_e32 v29, 0x1400, v30
	global_load_dwordx4 v[23:26], v[15:16], off offset:1504
	v_mov_b32_e32 v18, v14
	v_lshlrev_b64 v[15:16], 2, v[17:18]
	v_add_u32_e32 v45, 0x1800, v30
	v_add_co_u32_e64 v15, s[2:3], s8, v15
	v_addc_co_u32_e64 v16, s[2:3], v27, v16, s[2:3]
	global_load_dwordx4 v[37:40], v[15:16], off offset:1504
	v_add_u32_e32 v16, v10, v34
	v_add_u32_e32 v10, 0x1000, v30
	ds_read_b32 v18, v30
	v_lshl_add_u32 v15, v11, 2, 0
	v_add_u32_e32 v17, v1, v36
	v_add_u32_e32 v1, 0x600, v30
	;; [unrolled: 1-line block ×3, first 2 shown]
	ds_read_b32 v47, v33
	ds_read2_b32 v[27:28], v10 offset0:110 offset1:236
	ds_read2_b32 v[34:35], v29 offset0:106 offset1:232
	ds_read_b32 v10, v17
	ds_read_b32 v29, v16
	;; [unrolled: 1-line block ×3, first 2 shown]
	ds_read_u16 v49, v30 offset:2018
	ds_read2_b32 v[41:42], v1 offset0:120 offset1:246
	ds_read2_b32 v[43:44], v36 offset0:114 offset1:240
	;; [unrolled: 1-line block ×3, first 2 shown]
	s_waitcnt lgkmcnt(5)
	v_lshrrev_b32_e32 v58, 16, v29
	s_waitcnt lgkmcnt(4)
	v_lshrrev_b32_e32 v59, 16, v48
	;; [unrolled: 2-line block ×5, first 2 shown]
	v_lshrrev_b32_e32 v60, 16, v27
	v_lshrrev_b32_e32 v61, 16, v35
	;; [unrolled: 1-line block ×5, first 2 shown]
	s_movk_i32 s2, 0x3b9c
	s_mov_b32 s5, 0xbb9c
	v_lshrrev_b32_e32 v57, 16, v46
	s_movk_i32 s3, 0x38b4
	s_mov_b32 s6, 0xb8b4
	s_movk_i32 s4, 0x34f2
	v_lshrrev_b32_e32 v1, 16, v18
	v_lshrrev_b32_e32 v50, 16, v10
	;; [unrolled: 1-line block ×3, first 2 shown]
	s_waitcnt vmcnt(0)
	s_barrier
	v_mul_f16_sdwa v62, v19, v58 dst_sel:DWORD dst_unused:UNUSED_PAD src0_sel:WORD_1 src1_sel:DWORD
	v_mul_f16_sdwa v63, v19, v29 dst_sel:DWORD dst_unused:UNUSED_PAD src0_sel:WORD_1 src1_sel:DWORD
	;; [unrolled: 1-line block ×4, first 2 shown]
	v_fma_f16 v29, v19, v29, -v62
	v_fma_f16 v19, v19, v58, v63
	v_fma_f16 v48, v20, v48, -v64
	v_fma_f16 v20, v20, v59, v65
	v_mul_f16_sdwa v58, v49, v23 dst_sel:DWORD dst_unused:UNUSED_PAD src0_sel:DWORD src1_sel:WORD_1
	v_mul_f16_sdwa v59, v23, v41 dst_sel:DWORD dst_unused:UNUSED_PAD src0_sel:WORD_1 src1_sel:DWORD
	v_mul_f16_sdwa v64, v53, v26 dst_sel:DWORD dst_unused:UNUSED_PAD src0_sel:DWORD src1_sel:WORD_1
	v_fma_f16 v41, v23, v41, -v58
	v_fma_f16 v23, v49, v23, v59
	v_fma_f16 v49, v45, v26, -v64
	v_mul_f16_sdwa v45, v45, v26 dst_sel:DWORD dst_unused:UNUSED_PAD src0_sel:DWORD src1_sel:WORD_1
	v_fma_f16 v26, v53, v26, v45
	v_mul_f16_sdwa v45, v54, v37 dst_sel:DWORD dst_unused:UNUSED_PAD src0_sel:DWORD src1_sel:WORD_1
	v_fma_f16 v45, v42, v37, -v45
	v_mul_f16_sdwa v42, v42, v37 dst_sel:DWORD dst_unused:UNUSED_PAD src0_sel:DWORD src1_sel:WORD_1
	v_mul_f16_sdwa v66, v21, v60 dst_sel:DWORD dst_unused:UNUSED_PAD src0_sel:WORD_1 src1_sel:DWORD
	v_mul_f16_sdwa v67, v21, v27 dst_sel:DWORD dst_unused:UNUSED_PAD src0_sel:WORD_1 src1_sel:DWORD
	;; [unrolled: 1-line block ×4, first 2 shown]
	v_fma_f16 v37, v54, v37, v42
	v_mul_f16_sdwa v42, v55, v38 dst_sel:DWORD dst_unused:UNUSED_PAD src0_sel:DWORD src1_sel:WORD_1
	v_fma_f16 v27, v21, v27, -v66
	v_fma_f16 v21, v21, v60, v67
	v_fma_f16 v35, v22, v35, -v68
	v_fma_f16 v22, v22, v61, v69
	v_mul_f16_sdwa v60, v51, v24 dst_sel:DWORD dst_unused:UNUSED_PAD src0_sel:DWORD src1_sel:WORD_1
	v_mul_f16_sdwa v61, v43, v24 dst_sel:DWORD dst_unused:UNUSED_PAD src0_sel:DWORD src1_sel:WORD_1
	v_fma_f16 v42, v44, v38, -v42
	v_mul_f16_sdwa v44, v44, v38 dst_sel:DWORD dst_unused:UNUSED_PAD src0_sel:DWORD src1_sel:WORD_1
	v_mul_f16_sdwa v62, v52, v25 dst_sel:DWORD dst_unused:UNUSED_PAD src0_sel:DWORD src1_sel:WORD_1
	;; [unrolled: 1-line block ×3, first 2 shown]
	v_fma_f16 v43, v43, v24, -v60
	v_fma_f16 v24, v51, v24, v61
	v_fma_f16 v38, v55, v38, v44
	v_mul_f16_sdwa v44, v56, v39 dst_sel:DWORD dst_unused:UNUSED_PAD src0_sel:DWORD src1_sel:WORD_1
	v_add_f16_e32 v51, v48, v27
	v_fma_f16 v28, v28, v25, -v62
	v_fma_f16 v25, v52, v25, v63
	v_fma_f16 v44, v34, v39, -v44
	v_mul_f16_sdwa v34, v34, v39 dst_sel:DWORD dst_unused:UNUSED_PAD src0_sel:DWORD src1_sel:WORD_1
	v_fma_f16 v51, v51, -0.5, v18
	v_sub_f16_e32 v52, v19, v22
	v_fma_f16 v34, v56, v39, v34
	v_fma_f16 v53, v52, s2, v51
	v_sub_f16_e32 v54, v20, v21
	v_sub_f16_e32 v55, v29, v48
	;; [unrolled: 1-line block ×3, first 2 shown]
	v_fma_f16 v51, v52, s5, v51
	v_mul_f16_sdwa v39, v57, v40 dst_sel:DWORD dst_unused:UNUSED_PAD src0_sel:DWORD src1_sel:WORD_1
	v_fma_f16 v53, v54, s3, v53
	v_add_f16_e32 v55, v55, v56
	v_fma_f16 v51, v54, s6, v51
	v_fma_f16 v39, v46, v40, -v39
	v_mul_f16_sdwa v46, v46, v40 dst_sel:DWORD dst_unused:UNUSED_PAD src0_sel:DWORD src1_sel:WORD_1
	v_fma_f16 v53, v55, s4, v53
	v_fma_f16 v51, v55, s4, v51
	v_add_f16_e32 v55, v29, v35
	v_fma_f16 v40, v57, v40, v46
	v_add_f16_e32 v46, v18, v29
	v_fma_f16 v18, v55, -0.5, v18
	v_add_f16_e32 v46, v46, v48
	v_fma_f16 v55, v54, s5, v18
	v_sub_f16_e32 v56, v48, v29
	v_sub_f16_e32 v57, v27, v35
	v_fma_f16 v18, v54, s2, v18
	v_add_f16_e32 v54, v20, v21
	v_add_f16_e32 v46, v46, v27
	v_fma_f16 v55, v52, s3, v55
	v_add_f16_e32 v56, v56, v57
	v_fma_f16 v18, v52, s6, v18
	v_fma_f16 v54, v54, -0.5, v1
	v_sub_f16_e32 v29, v29, v35
	v_add_f16_e32 v46, v46, v35
	v_fma_f16 v55, v56, s4, v55
	v_fma_f16 v18, v56, s4, v18
	;; [unrolled: 1-line block ×3, first 2 shown]
	v_sub_f16_e32 v27, v48, v27
	v_sub_f16_e32 v48, v19, v20
	v_sub_f16_e32 v56, v22, v21
	v_fma_f16 v54, v29, s2, v54
	v_fma_f16 v35, v27, s6, v35
	v_add_f16_e32 v48, v48, v56
	v_fma_f16 v54, v27, s3, v54
	v_add_f16_e32 v52, v1, v19
	v_fma_f16 v35, v48, s4, v35
	v_fma_f16 v48, v48, s4, v54
	v_add_f16_e32 v54, v19, v22
	v_add_f16_e32 v52, v52, v20
	v_fma_f16 v1, v54, -0.5, v1
	v_add_f16_e32 v52, v52, v21
	v_fma_f16 v54, v27, s2, v1
	v_sub_f16_e32 v19, v20, v19
	v_sub_f16_e32 v20, v21, v22
	v_add_f16_e32 v21, v43, v28
	v_add_f16_e32 v52, v52, v22
	v_fma_f16 v54, v29, s6, v54
	v_add_f16_e32 v19, v19, v20
	v_fma_f16 v1, v27, s5, v1
	v_fma_f16 v21, v21, -0.5, v10
	v_sub_f16_e32 v22, v23, v26
	v_fma_f16 v20, v19, s4, v54
	v_fma_f16 v1, v29, s3, v1
	;; [unrolled: 1-line block ×3, first 2 shown]
	v_sub_f16_e32 v29, v24, v25
	v_sub_f16_e32 v54, v41, v43
	;; [unrolled: 1-line block ×3, first 2 shown]
	v_fma_f16 v21, v22, s5, v21
	v_fma_f16 v27, v29, s3, v27
	v_add_f16_e32 v54, v54, v56
	v_fma_f16 v21, v29, s6, v21
	v_fma_f16 v27, v54, s4, v27
	;; [unrolled: 1-line block ×3, first 2 shown]
	v_add_f16_e32 v54, v41, v49
	v_fma_f16 v1, v19, s4, v1
	v_add_f16_e32 v19, v10, v41
	v_fma_f16 v10, v54, -0.5, v10
	v_add_f16_e32 v19, v19, v43
	v_fma_f16 v54, v29, s5, v10
	v_fma_f16 v10, v29, s2, v10
	v_add_f16_e32 v29, v24, v25
	v_add_f16_e32 v19, v19, v28
	v_sub_f16_e32 v56, v43, v41
	v_sub_f16_e32 v57, v28, v49
	v_fma_f16 v29, v29, -0.5, v50
	v_sub_f16_e32 v41, v41, v49
	v_add_f16_e32 v19, v19, v49
	v_fma_f16 v54, v22, s3, v54
	v_add_f16_e32 v56, v56, v57
	v_fma_f16 v10, v22, s6, v10
	v_fma_f16 v49, v41, s5, v29
	v_sub_f16_e32 v28, v43, v28
	v_fma_f16 v54, v56, s4, v54
	v_fma_f16 v10, v56, s4, v10
	;; [unrolled: 1-line block ×3, first 2 shown]
	v_sub_f16_e32 v49, v23, v24
	v_sub_f16_e32 v56, v26, v25
	v_fma_f16 v29, v41, s2, v29
	v_add_f16_e32 v22, v50, v23
	v_add_f16_e32 v49, v49, v56
	v_fma_f16 v29, v28, s3, v29
	v_add_f16_e32 v22, v22, v24
	v_fma_f16 v43, v49, s4, v43
	v_fma_f16 v29, v49, s4, v29
	v_add_f16_e32 v49, v23, v26
	v_add_f16_e32 v22, v22, v25
	v_fma_f16 v49, v49, -0.5, v50
	v_add_f16_e32 v22, v22, v26
	v_fma_f16 v50, v28, s2, v49
	v_sub_f16_e32 v23, v24, v23
	v_sub_f16_e32 v24, v25, v26
	v_add_f16_e32 v26, v42, v44
	v_fma_f16 v50, v41, s6, v50
	v_add_f16_e32 v23, v23, v24
	v_fma_f16 v25, v28, s5, v49
	v_fma_f16 v26, v26, -0.5, v47
	v_sub_f16_e32 v28, v37, v40
	v_fma_f16 v24, v23, s4, v50
	v_fma_f16 v25, v41, s3, v25
	;; [unrolled: 1-line block ×3, first 2 shown]
	v_sub_f16_e32 v49, v38, v34
	v_sub_f16_e32 v50, v45, v42
	;; [unrolled: 1-line block ×3, first 2 shown]
	v_fma_f16 v26, v28, s5, v26
	v_fma_f16 v41, v49, s3, v41
	v_add_f16_e32 v50, v50, v56
	v_fma_f16 v26, v49, s6, v26
	v_fma_f16 v23, v23, s4, v25
	v_add_f16_e32 v25, v47, v45
	;; [unrolled: 3-line block ×3, first 2 shown]
	v_add_f16_e32 v25, v25, v42
	v_fma_f16 v47, v50, -0.5, v47
	v_add_f16_e32 v25, v25, v44
	v_fma_f16 v50, v49, s5, v47
	v_fma_f16 v47, v49, s2, v47
	v_add_f16_e32 v49, v38, v34
	v_add_f16_e32 v25, v25, v39
	v_sub_f16_e32 v56, v42, v45
	v_sub_f16_e32 v57, v44, v39
	v_fma_f16 v49, v49, -0.5, v36
	v_sub_f16_e32 v39, v45, v39
	v_fma_f16 v50, v28, s3, v50
	v_add_f16_e32 v56, v56, v57
	v_fma_f16 v28, v28, s6, v47
	v_fma_f16 v45, v39, s5, v49
	v_sub_f16_e32 v42, v42, v44
	v_fma_f16 v50, v56, s4, v50
	v_fma_f16 v28, v56, s4, v28
	;; [unrolled: 1-line block ×3, first 2 shown]
	v_sub_f16_e32 v45, v37, v38
	v_sub_f16_e32 v56, v40, v34
	v_fma_f16 v49, v39, s2, v49
	v_add_f16_e32 v45, v45, v56
	v_fma_f16 v49, v42, s3, v49
	v_add_f16_e32 v47, v36, v37
	v_fma_f16 v44, v45, s4, v44
	v_fma_f16 v45, v45, s4, v49
	v_add_f16_e32 v49, v37, v40
	v_add_f16_e32 v47, v47, v38
	v_fma_f16 v36, v49, -0.5, v36
	v_add_f16_e32 v47, v47, v34
	v_fma_f16 v49, v42, s2, v36
	v_sub_f16_e32 v37, v38, v37
	v_sub_f16_e32 v34, v34, v40
	v_fma_f16 v36, v42, s5, v36
	v_pack_b32_f16 v1, v18, v1
	v_fma_f16 v49, v39, s6, v49
	v_add_f16_e32 v34, v37, v34
	v_fma_f16 v36, v39, s3, v36
	ds_write_b32 v30, v1 offset:4536
	v_pack_b32_f16 v1, v51, v48
	v_fma_f16 v37, v34, s4, v49
	v_fma_f16 v34, v34, s4, v36
	v_pack_b32_f16 v36, v46, v52
	v_pack_b32_f16 v35, v53, v35
	v_pack_b32_f16 v20, v55, v20
	ds_write_b32 v30, v1 offset:6048
	v_pack_b32_f16 v1, v19, v22
	ds_write_b32 v30, v36
	ds_write_b32 v30, v35 offset:1512
	ds_write_b32 v30, v20 offset:3024
	ds_write_b32 v17, v1
	v_pack_b32_f16 v1, v27, v43
	ds_write_b32 v17, v1 offset:1512
	v_pack_b32_f16 v1, v54, v24
	ds_write_b32 v17, v1 offset:3024
	v_pack_b32_f16 v1, v10, v23
	v_add_f16_e32 v47, v47, v40
	ds_write_b32 v17, v1 offset:4536
	v_pack_b32_f16 v1, v21, v29
	ds_write_b32 v17, v1 offset:6048
	v_pack_b32_f16 v1, v25, v47
	ds_write_b32 v33, v1
	v_pack_b32_f16 v1, v41, v44
	ds_write_b32 v33, v1 offset:1512
	v_pack_b32_f16 v1, v50, v37
	ds_write_b32 v33, v1 offset:3024
	;; [unrolled: 2-line block ×4, first 2 shown]
	s_waitcnt lgkmcnt(0)
	s_barrier
	ds_read_b32 v21, v30
	s_add_u32 s6, s8, 0x1d80
	s_addc_u32 s7, s9, 0
	v_sub_u32_e32 v18, 0, v13
	v_cmp_ne_u32_e64 s[2:3], 0, v0
                                        ; implicit-def: $vgpr20
                                        ; implicit-def: $vgpr19
                                        ; implicit-def: $vgpr10
	s_and_saveexec_b64 s[4:5], s[2:3]
	s_xor_b64 s[4:5], exec, s[4:5]
	s_cbranch_execz .LBB0_21
; %bb.20:
	v_mov_b32_e32 v1, v14
	v_lshlrev_b64 v[13:14], 2, v[0:1]
	v_mov_b32_e32 v1, s7
	v_add_co_u32_e64 v13, s[2:3], s6, v13
	v_addc_co_u32_e64 v14, s[2:3], v1, v14, s[2:3]
	global_load_dword v1, v[13:14], off
	ds_read_b32 v10, v18 offset:7560
	s_waitcnt lgkmcnt(0)
	v_sub_f16_e32 v19, v21, v10
	v_add_f16_e32 v13, v10, v21
	v_add_f16_sdwa v14, v10, v21 dst_sel:DWORD dst_unused:UNUSED_PAD src0_sel:WORD_1 src1_sel:WORD_1
	v_sub_f16_sdwa v10, v21, v10 dst_sel:DWORD dst_unused:UNUSED_PAD src0_sel:WORD_1 src1_sel:WORD_1
	v_mul_f16_e32 v20, 0.5, v19
	v_mul_f16_e32 v14, 0.5, v14
	v_mul_f16_e32 v10, 0.5, v10
	s_waitcnt vmcnt(0)
	v_lshrrev_b32_e32 v19, 16, v1
	v_mul_f16_e32 v21, v19, v20
	v_fma_f16 v22, v14, v19, v10
	v_fma_f16 v23, v14, v19, -v10
	v_fma_f16 v19, v13, 0.5, v21
	v_fma_f16 v13, v13, 0.5, -v21
	v_fma_f16 v21, v1, v14, v19
	v_fma_f16 v10, -v1, v20, v22
	v_fma_f16 v19, -v1, v14, v13
	ds_write_b16 v30, v21
	v_fma_f16 v20, -v1, v20, v23
                                        ; implicit-def: $vgpr21
.LBB0_21:
	s_or_saveexec_b64 s[2:3], s[4:5]
	v_sub_u32_e32 v1, 0, v5
	v_sub_u32_e32 v14, 0, v7
	s_xor_b64 exec, exec, s[2:3]
	s_cbranch_execz .LBB0_23
; %bb.22:
	v_mov_b32_e32 v10, 0
	ds_read_u16 v5, v10 offset:3782
	s_waitcnt lgkmcnt(1)
	v_add_f16_sdwa v7, v21, v21 dst_sel:DWORD dst_unused:UNUSED_PAD src0_sel:WORD_1 src1_sel:DWORD
	v_sub_f16_sdwa v19, v21, v21 dst_sel:DWORD dst_unused:UNUSED_PAD src0_sel:DWORD src1_sel:WORD_1
	v_mov_b32_e32 v20, 0
	ds_write_b16 v30, v7
	s_waitcnt lgkmcnt(1)
	v_xor_b32_e32 v5, 0x8000, v5
	ds_write_b16 v10, v5 offset:3782
.LBB0_23:
	s_or_b64 exec, exec, s[2:3]
	v_mov_b32_e32 v5, 0
	s_waitcnt lgkmcnt(0)
	v_lshlrev_b64 v[21:22], 2, v[4:5]
	v_mov_b32_e32 v4, s7
	v_add_co_u32_e64 v21, s[2:3], s6, v21
	v_addc_co_u32_e64 v22, s[2:3], v4, v22, s[2:3]
	global_load_dword v4, v[21:22], off
	v_mov_b32_e32 v13, v5
	v_lshlrev_b64 v[12:13], 2, v[12:13]
	v_mov_b32_e32 v7, s7
	v_add_co_u32_e64 v12, s[2:3], s6, v12
	v_addc_co_u32_e64 v13, s[2:3], v7, v13, s[2:3]
	global_load_dword v13, v[12:13], off
	ds_write_b16 v30, v10 offset:2
	v_mov_b32_e32 v10, v5
	v_lshlrev_b64 v[9:10], 2, v[9:10]
	s_mov_b32 s5, 0x5040100
	v_add_co_u32_e64 v9, s[2:3], s6, v9
	v_addc_co_u32_e64 v10, s[2:3], v7, v10, s[2:3]
	global_load_dword v24, v[9:10], off
	v_mov_b32_e32 v7, v5
	v_lshlrev_b64 v[6:7], 2, v[6:7]
	v_mov_b32_e32 v9, v5
	v_mov_b32_e32 v21, s7
	v_lshlrev_b64 v[8:9], 2, v[8:9]
	v_add_co_u32_e64 v6, s[2:3], s6, v6
	v_perm_b32 v10, v20, v19, s5
	v_mov_b32_e32 v12, v5
	v_addc_co_u32_e64 v7, s[2:3], v21, v7, s[2:3]
	v_mov_b32_e32 v22, s7
	ds_write_b32 v18, v10 offset:7560
	v_lshlrev_b64 v[10:11], 2, v[11:12]
	v_add_co_u32_e64 v8, s[2:3], s6, v8
	v_addc_co_u32_e64 v9, s[2:3], v22, v9, s[2:3]
	v_mov_b32_e32 v23, s7
	v_add_co_u32_e64 v10, s[2:3], s6, v10
	ds_read_b32 v12, v17
	ds_read_b32 v19, v18 offset:7056
	v_addc_co_u32_e64 v11, s[2:3], v23, v11, s[2:3]
	global_load_dword v20, v[6:7], off
	global_load_dword v21, v[8:9], off
	;; [unrolled: 1-line block ×3, first 2 shown]
	s_mov_b32 s4, 0xffff
	s_waitcnt lgkmcnt(0)
	v_pk_add_f16 v6, v12, v19 neg_lo:[0,1] neg_hi:[0,1]
	v_pk_add_f16 v7, v12, v19
	v_bfi_b32 v8, s4, v6, v7
	v_bfi_b32 v6, s4, v7, v6
	v_pk_mul_f16 v7, v8, 0.5 op_sel_hi:[1,0]
	v_pk_mul_f16 v6, v6, 0.5 op_sel_hi:[1,0]
	v_add_u32_e32 v1, v31, v1
	s_waitcnt vmcnt(5)
	v_pk_fma_f16 v8, v4, v7, v6 op_sel:[1,0,0]
	v_pk_mul_f16 v9, v4, v7 op_sel_hi:[0,1]
	v_pk_fma_f16 v10, v4, v7, v6 op_sel:[1,0,0] neg_lo:[1,0,0] neg_hi:[1,0,0]
	v_pk_fma_f16 v4, v4, v7, v6 op_sel:[1,0,0] neg_lo:[0,0,1] neg_hi:[0,0,1]
	v_pk_add_f16 v6, v8, v9 op_sel:[0,1] op_sel_hi:[1,0]
	v_pk_add_f16 v7, v8, v9 op_sel:[0,1] op_sel_hi:[1,0] neg_lo:[0,1] neg_hi:[0,1]
	v_pk_add_f16 v8, v10, v9 op_sel:[0,1] op_sel_hi:[1,0] neg_lo:[0,1] neg_hi:[0,1]
	;; [unrolled: 1-line block ×3, first 2 shown]
	v_bfi_b32 v6, s4, v6, v7
	v_bfi_b32 v4, s4, v8, v4
	ds_write_b32 v17, v6
	ds_write_b32 v18, v4 offset:7056
	ds_read_b32 v4, v33
	ds_read_b32 v6, v18 offset:6552
	s_waitcnt lgkmcnt(0)
	v_pk_add_f16 v7, v4, v6 neg_lo:[0,1] neg_hi:[0,1]
	v_pk_add_f16 v4, v4, v6
	v_bfi_b32 v6, s4, v7, v4
	v_bfi_b32 v4, s4, v4, v7
	v_pk_mul_f16 v6, v6, 0.5 op_sel_hi:[1,0]
	v_pk_mul_f16 v4, v4, 0.5 op_sel_hi:[1,0]
	s_waitcnt vmcnt(4)
	v_pk_fma_f16 v7, v13, v6, v4 op_sel:[1,0,0]
	v_pk_mul_f16 v8, v13, v6 op_sel_hi:[0,1]
	v_pk_fma_f16 v9, v13, v6, v4 op_sel:[1,0,0] neg_lo:[1,0,0] neg_hi:[1,0,0]
	v_pk_fma_f16 v4, v13, v6, v4 op_sel:[1,0,0] neg_lo:[0,0,1] neg_hi:[0,0,1]
	v_pk_add_f16 v6, v7, v8 op_sel:[0,1] op_sel_hi:[1,0]
	v_pk_add_f16 v7, v7, v8 op_sel:[0,1] op_sel_hi:[1,0] neg_lo:[0,1] neg_hi:[0,1]
	v_pk_add_f16 v9, v9, v8 op_sel:[0,1] op_sel_hi:[1,0] neg_lo:[0,1] neg_hi:[0,1]
	;; [unrolled: 1-line block ×3, first 2 shown]
	v_bfi_b32 v6, s4, v6, v7
	v_bfi_b32 v4, s4, v9, v4
	ds_write_b32 v33, v6
	ds_write_b32 v18, v4 offset:6552
	ds_read_b32 v4, v16
	ds_read_b32 v6, v18 offset:6048
	s_waitcnt lgkmcnt(0)
	v_pk_add_f16 v7, v4, v6 neg_lo:[0,1] neg_hi:[0,1]
	v_pk_add_f16 v4, v4, v6
	v_bfi_b32 v6, s4, v7, v4
	v_bfi_b32 v4, s4, v4, v7
	v_pk_mul_f16 v6, v6, 0.5 op_sel_hi:[1,0]
	v_pk_mul_f16 v4, v4, 0.5 op_sel_hi:[1,0]
	s_waitcnt vmcnt(3)
	v_pk_fma_f16 v7, v24, v6, v4 op_sel:[1,0,0]
	v_pk_mul_f16 v8, v24, v6 op_sel_hi:[0,1]
	v_pk_fma_f16 v9, v24, v6, v4 op_sel:[1,0,0] neg_lo:[1,0,0] neg_hi:[1,0,0]
	v_pk_fma_f16 v4, v24, v6, v4 op_sel:[1,0,0] neg_lo:[0,0,1] neg_hi:[0,0,1]
	v_pk_add_f16 v6, v7, v8 op_sel:[0,1] op_sel_hi:[1,0]
	v_pk_add_f16 v7, v7, v8 op_sel:[0,1] op_sel_hi:[1,0] neg_lo:[0,1] neg_hi:[0,1]
	v_pk_add_f16 v9, v9, v8 op_sel:[0,1] op_sel_hi:[1,0] neg_lo:[0,1] neg_hi:[0,1]
	;; [unrolled: 1-line block ×3, first 2 shown]
	v_bfi_b32 v6, s4, v6, v7
	v_bfi_b32 v4, s4, v9, v4
	ds_write_b32 v16, v6
	ds_write_b32 v18, v4 offset:6048
	v_add_u32_e32 v4, v32, v14
	ds_read_b32 v6, v4
	ds_read_b32 v7, v18 offset:5544
	s_waitcnt lgkmcnt(0)
	v_pk_add_f16 v8, v6, v7 neg_lo:[0,1] neg_hi:[0,1]
	v_pk_add_f16 v6, v6, v7
	v_bfi_b32 v7, s4, v8, v6
	v_bfi_b32 v6, s4, v6, v8
	v_pk_mul_f16 v7, v7, 0.5 op_sel_hi:[1,0]
	v_pk_mul_f16 v6, v6, 0.5 op_sel_hi:[1,0]
	s_waitcnt vmcnt(2)
	v_pk_fma_f16 v8, v20, v7, v6 op_sel:[1,0,0]
	v_pk_mul_f16 v9, v20, v7 op_sel_hi:[0,1]
	v_pk_add_f16 v10, v8, v9 op_sel:[0,1] op_sel_hi:[1,0]
	v_pk_add_f16 v8, v8, v9 op_sel:[0,1] op_sel_hi:[1,0] neg_lo:[0,1] neg_hi:[0,1]
	v_bfi_b32 v8, s4, v10, v8
	ds_write_b32 v4, v8
	v_pk_fma_f16 v4, v20, v7, v6 op_sel:[1,0,0] neg_lo:[1,0,0] neg_hi:[1,0,0]
	v_pk_fma_f16 v6, v20, v7, v6 op_sel:[1,0,0] neg_lo:[0,0,1] neg_hi:[0,0,1]
	v_pk_add_f16 v4, v4, v9 op_sel:[0,1] op_sel_hi:[1,0] neg_lo:[0,1] neg_hi:[0,1]
	v_pk_add_f16 v6, v6, v9 op_sel:[0,1] op_sel_hi:[1,0] neg_lo:[0,1] neg_hi:[0,1]
	v_bfi_b32 v4, s4, v4, v6
	ds_write_b32 v18, v4 offset:5544
	ds_read_b32 v4, v1
	ds_read_b32 v6, v18 offset:5040
	s_waitcnt lgkmcnt(0)
	v_pk_add_f16 v7, v4, v6 neg_lo:[0,1] neg_hi:[0,1]
	v_pk_add_f16 v4, v4, v6
	v_bfi_b32 v6, s4, v7, v4
	v_bfi_b32 v4, s4, v4, v7
	v_pk_mul_f16 v6, v6, 0.5 op_sel_hi:[1,0]
	v_pk_mul_f16 v4, v4, 0.5 op_sel_hi:[1,0]
	s_waitcnt vmcnt(1)
	v_pk_fma_f16 v7, v21, v6, v4 op_sel:[1,0,0]
	v_pk_mul_f16 v8, v21, v6 op_sel_hi:[0,1]
	v_pk_add_f16 v9, v7, v8 op_sel:[0,1] op_sel_hi:[1,0]
	v_pk_add_f16 v7, v7, v8 op_sel:[0,1] op_sel_hi:[1,0] neg_lo:[0,1] neg_hi:[0,1]
	v_bfi_b32 v7, s4, v9, v7
	ds_write_b32 v1, v7
	v_pk_fma_f16 v1, v21, v6, v4 op_sel:[1,0,0] neg_lo:[1,0,0] neg_hi:[1,0,0]
	v_pk_fma_f16 v4, v21, v6, v4 op_sel:[1,0,0] neg_lo:[0,0,1] neg_hi:[0,0,1]
	v_pk_add_f16 v1, v1, v8 op_sel:[0,1] op_sel_hi:[1,0] neg_lo:[0,1] neg_hi:[0,1]
	v_pk_add_f16 v4, v4, v8 op_sel:[0,1] op_sel_hi:[1,0] neg_lo:[0,1] neg_hi:[0,1]
	v_bfi_b32 v1, s4, v1, v4
	ds_write_b32 v18, v1 offset:5040
	;; [unrolled: 22-line block ×3, first 2 shown]
	s_and_saveexec_b64 s[2:3], s[0:1]
	s_cbranch_execz .LBB0_25
; %bb.24:
	v_mov_b32_e32 v1, v5
	v_lshlrev_b64 v[4:5], 2, v[0:1]
	v_mov_b32_e32 v1, s7
	v_add_co_u32_e64 v4, s[0:1], s6, v4
	v_addc_co_u32_e64 v5, s[0:1], v1, v5, s[0:1]
	global_load_dword v1, v[4:5], off offset:3528
	ds_read_b32 v4, v30 offset:3528
	ds_read_b32 v5, v18 offset:4032
	s_waitcnt lgkmcnt(0)
	v_pk_add_f16 v6, v4, v5 neg_lo:[0,1] neg_hi:[0,1]
	v_pk_add_f16 v4, v4, v5
	v_bfi_b32 v5, s4, v6, v4
	v_bfi_b32 v4, s4, v4, v6
	v_pk_mul_f16 v5, v5, 0.5 op_sel_hi:[1,0]
	v_pk_mul_f16 v4, v4, 0.5 op_sel_hi:[1,0]
	s_waitcnt vmcnt(0)
	v_pk_fma_f16 v6, v1, v5, v4 op_sel:[1,0,0]
	v_pk_mul_f16 v7, v1, v5 op_sel_hi:[0,1]
	v_pk_fma_f16 v8, v1, v5, v4 op_sel:[1,0,0] neg_lo:[1,0,0] neg_hi:[1,0,0]
	v_pk_fma_f16 v1, v1, v5, v4 op_sel:[1,0,0] neg_lo:[0,0,1] neg_hi:[0,0,1]
	v_pk_add_f16 v4, v6, v7 op_sel:[0,1] op_sel_hi:[1,0]
	v_pk_add_f16 v5, v6, v7 op_sel:[0,1] op_sel_hi:[1,0] neg_lo:[0,1] neg_hi:[0,1]
	v_pk_add_f16 v6, v8, v7 op_sel:[0,1] op_sel_hi:[1,0] neg_lo:[0,1] neg_hi:[0,1]
	;; [unrolled: 1-line block ×3, first 2 shown]
	v_bfi_b32 v4, s4, v4, v5
	v_bfi_b32 v1, s4, v6, v1
	ds_write_b32 v30, v4 offset:3528
	ds_write_b32 v18, v1 offset:4032
.LBB0_25:
	s_or_b64 exec, exec, s[2:3]
	s_waitcnt lgkmcnt(0)
	s_barrier
	s_and_saveexec_b64 s[0:1], vcc
	s_cbranch_execz .LBB0_28
; %bb.26:
	v_mov_b32_e32 v1, 0
	ds_read2_b32 v[5:6], v30 offset1:126
	v_mov_b32_e32 v7, s13
	v_add_co_u32_e32 v4, vcc, s12, v2
	v_addc_co_u32_e32 v2, vcc, v7, v3, vcc
	v_lshlrev_b64 v[7:8], 2, v[0:1]
	v_add_u32_e32 v3, 0x200, v30
	ds_read2_b32 v[9:10], v3 offset0:124 offset1:250
	v_add_co_u32_e32 v7, vcc, v4, v7
	v_addc_co_u32_e32 v8, vcc, v2, v8, vcc
	s_waitcnt lgkmcnt(1)
	global_store_dword v[7:8], v5, off
	global_store_dword v[7:8], v6, off offset:504
	s_waitcnt lgkmcnt(0)
	global_store_dword v[7:8], v9, off offset:1008
	global_store_dword v[7:8], v10, off offset:1512
	v_add_u32_e32 v3, 0x600, v30
	ds_read2_b32 v[5:6], v3 offset0:120 offset1:246
	v_add_u32_e32 v3, 0xa00, v30
	ds_read2_b32 v[9:10], v3 offset0:116 offset1:242
	v_add_u32_e32 v3, 0xe00, v30
	ds_read2_b32 v[11:12], v3 offset0:112 offset1:238
	s_movk_i32 s0, 0x1000
	s_waitcnt lgkmcnt(2)
	global_store_dword v[7:8], v5, off offset:2016
	global_store_dword v[7:8], v6, off offset:2520
	s_waitcnt lgkmcnt(1)
	global_store_dword v[7:8], v9, off offset:3024
	global_store_dword v[7:8], v10, off offset:3528
	s_waitcnt lgkmcnt(0)
	global_store_dword v[7:8], v11, off offset:4032
	v_add_co_u32_e32 v5, vcc, s0, v7
	v_add_u32_e32 v3, 0x1200, v30
	v_addc_co_u32_e32 v6, vcc, 0, v8, vcc
	ds_read2_b32 v[7:8], v3 offset0:108 offset1:234
	v_add_u32_e32 v3, 0x1600, v30
	ds_read2_b32 v[9:10], v3 offset0:104 offset1:230
	s_movk_i32 s0, 0x7d
	ds_read_b32 v3, v30 offset:7056
	v_cmp_eq_u32_e32 vcc, s0, v0
	global_store_dword v[5:6], v12, off offset:440
	s_waitcnt lgkmcnt(2)
	global_store_dword v[5:6], v7, off offset:944
	global_store_dword v[5:6], v8, off offset:1448
	s_waitcnt lgkmcnt(1)
	global_store_dword v[5:6], v9, off offset:1952
	;; [unrolled: 3-line block ×3, first 2 shown]
	s_and_b64 exec, exec, vcc
	s_cbranch_execz .LBB0_28
; %bb.27:
	ds_read_b32 v3, v1 offset:7560
	v_add_co_u32_e32 v0, vcc, 0x1000, v4
	v_addc_co_u32_e32 v1, vcc, 0, v2, vcc
	s_waitcnt lgkmcnt(0)
	global_store_dword v[0:1], v3, off offset:3464
.LBB0_28:
	s_endpgm
	.section	.rodata,"a",@progbits
	.p2align	6, 0x0
	.amdhsa_kernel fft_rtc_fwd_len1890_factors_2_3_3_3_7_5_wgs_126_tpt_126_halfLds_half_ip_CI_unitstride_sbrr_R2C_dirReg
		.amdhsa_group_segment_fixed_size 0
		.amdhsa_private_segment_fixed_size 0
		.amdhsa_kernarg_size 88
		.amdhsa_user_sgpr_count 6
		.amdhsa_user_sgpr_private_segment_buffer 1
		.amdhsa_user_sgpr_dispatch_ptr 0
		.amdhsa_user_sgpr_queue_ptr 0
		.amdhsa_user_sgpr_kernarg_segment_ptr 1
		.amdhsa_user_sgpr_dispatch_id 0
		.amdhsa_user_sgpr_flat_scratch_init 0
		.amdhsa_user_sgpr_private_segment_size 0
		.amdhsa_uses_dynamic_stack 0
		.amdhsa_system_sgpr_private_segment_wavefront_offset 0
		.amdhsa_system_sgpr_workgroup_id_x 1
		.amdhsa_system_sgpr_workgroup_id_y 0
		.amdhsa_system_sgpr_workgroup_id_z 0
		.amdhsa_system_sgpr_workgroup_info 0
		.amdhsa_system_vgpr_workitem_id 0
		.amdhsa_next_free_vgpr 77
		.amdhsa_next_free_sgpr 22
		.amdhsa_reserve_vcc 1
		.amdhsa_reserve_flat_scratch 0
		.amdhsa_float_round_mode_32 0
		.amdhsa_float_round_mode_16_64 0
		.amdhsa_float_denorm_mode_32 3
		.amdhsa_float_denorm_mode_16_64 3
		.amdhsa_dx10_clamp 1
		.amdhsa_ieee_mode 1
		.amdhsa_fp16_overflow 0
		.amdhsa_exception_fp_ieee_invalid_op 0
		.amdhsa_exception_fp_denorm_src 0
		.amdhsa_exception_fp_ieee_div_zero 0
		.amdhsa_exception_fp_ieee_overflow 0
		.amdhsa_exception_fp_ieee_underflow 0
		.amdhsa_exception_fp_ieee_inexact 0
		.amdhsa_exception_int_div_zero 0
	.end_amdhsa_kernel
	.text
.Lfunc_end0:
	.size	fft_rtc_fwd_len1890_factors_2_3_3_3_7_5_wgs_126_tpt_126_halfLds_half_ip_CI_unitstride_sbrr_R2C_dirReg, .Lfunc_end0-fft_rtc_fwd_len1890_factors_2_3_3_3_7_5_wgs_126_tpt_126_halfLds_half_ip_CI_unitstride_sbrr_R2C_dirReg
                                        ; -- End function
	.section	.AMDGPU.csdata,"",@progbits
; Kernel info:
; codeLenInByte = 13144
; NumSgprs: 26
; NumVgprs: 77
; ScratchSize: 0
; MemoryBound: 0
; FloatMode: 240
; IeeeMode: 1
; LDSByteSize: 0 bytes/workgroup (compile time only)
; SGPRBlocks: 3
; VGPRBlocks: 19
; NumSGPRsForWavesPerEU: 26
; NumVGPRsForWavesPerEU: 77
; Occupancy: 3
; WaveLimiterHint : 1
; COMPUTE_PGM_RSRC2:SCRATCH_EN: 0
; COMPUTE_PGM_RSRC2:USER_SGPR: 6
; COMPUTE_PGM_RSRC2:TRAP_HANDLER: 0
; COMPUTE_PGM_RSRC2:TGID_X_EN: 1
; COMPUTE_PGM_RSRC2:TGID_Y_EN: 0
; COMPUTE_PGM_RSRC2:TGID_Z_EN: 0
; COMPUTE_PGM_RSRC2:TIDIG_COMP_CNT: 0
	.type	__hip_cuid_2f91e7a86aa19b1,@object ; @__hip_cuid_2f91e7a86aa19b1
	.section	.bss,"aw",@nobits
	.globl	__hip_cuid_2f91e7a86aa19b1
__hip_cuid_2f91e7a86aa19b1:
	.byte	0                               ; 0x0
	.size	__hip_cuid_2f91e7a86aa19b1, 1

	.ident	"AMD clang version 19.0.0git (https://github.com/RadeonOpenCompute/llvm-project roc-6.4.0 25133 c7fe45cf4b819c5991fe208aaa96edf142730f1d)"
	.section	".note.GNU-stack","",@progbits
	.addrsig
	.addrsig_sym __hip_cuid_2f91e7a86aa19b1
	.amdgpu_metadata
---
amdhsa.kernels:
  - .args:
      - .actual_access:  read_only
        .address_space:  global
        .offset:         0
        .size:           8
        .value_kind:     global_buffer
      - .offset:         8
        .size:           8
        .value_kind:     by_value
      - .actual_access:  read_only
        .address_space:  global
        .offset:         16
        .size:           8
        .value_kind:     global_buffer
      - .actual_access:  read_only
        .address_space:  global
        .offset:         24
        .size:           8
        .value_kind:     global_buffer
      - .offset:         32
        .size:           8
        .value_kind:     by_value
      - .actual_access:  read_only
        .address_space:  global
        .offset:         40
        .size:           8
        .value_kind:     global_buffer
      - .actual_access:  read_only
        .address_space:  global
        .offset:         48
        .size:           8
        .value_kind:     global_buffer
      - .offset:         56
        .size:           4
        .value_kind:     by_value
      - .actual_access:  read_only
        .address_space:  global
        .offset:         64
        .size:           8
        .value_kind:     global_buffer
      - .actual_access:  read_only
        .address_space:  global
        .offset:         72
        .size:           8
        .value_kind:     global_buffer
      - .address_space:  global
        .offset:         80
        .size:           8
        .value_kind:     global_buffer
    .group_segment_fixed_size: 0
    .kernarg_segment_align: 8
    .kernarg_segment_size: 88
    .language:       OpenCL C
    .language_version:
      - 2
      - 0
    .max_flat_workgroup_size: 126
    .name:           fft_rtc_fwd_len1890_factors_2_3_3_3_7_5_wgs_126_tpt_126_halfLds_half_ip_CI_unitstride_sbrr_R2C_dirReg
    .private_segment_fixed_size: 0
    .sgpr_count:     26
    .sgpr_spill_count: 0
    .symbol:         fft_rtc_fwd_len1890_factors_2_3_3_3_7_5_wgs_126_tpt_126_halfLds_half_ip_CI_unitstride_sbrr_R2C_dirReg.kd
    .uniform_work_group_size: 1
    .uses_dynamic_stack: false
    .vgpr_count:     77
    .vgpr_spill_count: 0
    .wavefront_size: 64
amdhsa.target:   amdgcn-amd-amdhsa--gfx906
amdhsa.version:
  - 1
  - 2
...

	.end_amdgpu_metadata
